;; amdgpu-corpus repo=ROCm/rocFFT kind=compiled arch=gfx1100 opt=O3
	.text
	.amdgcn_target "amdgcn-amd-amdhsa--gfx1100"
	.amdhsa_code_object_version 6
	.protected	bluestein_single_fwd_len2160_dim1_dp_op_CI_CI ; -- Begin function bluestein_single_fwd_len2160_dim1_dp_op_CI_CI
	.globl	bluestein_single_fwd_len2160_dim1_dp_op_CI_CI
	.p2align	8
	.type	bluestein_single_fwd_len2160_dim1_dp_op_CI_CI,@function
bluestein_single_fwd_len2160_dim1_dp_op_CI_CI: ; @bluestein_single_fwd_len2160_dim1_dp_op_CI_CI
; %bb.0:
	s_load_b128 s[16:19], s[0:1], 0x28
	v_mul_u32_u24_e32 v1, 0x445, v0
	s_mov_b32 s2, exec_lo
	v_mov_b32_e32 v8, 0
	s_delay_alu instid0(VALU_DEP_2) | instskip(NEXT) | instid1(VALU_DEP_1)
	v_lshrrev_b32_e32 v1, 16, v1
	v_add_nc_u32_e32 v7, s15, v1
	s_waitcnt lgkmcnt(0)
	s_delay_alu instid0(VALU_DEP_1)
	v_cmpx_gt_u64_e64 s[16:17], v[7:8]
	s_cbranch_execz .LBB0_15
; %bb.1:
	s_load_b128 s[4:7], s[0:1], 0x18
	v_mul_lo_u16 v1, v1, 60
	s_delay_alu instid0(VALU_DEP_1) | instskip(NEXT) | instid1(VALU_DEP_1)
	v_sub_nc_u16 v2, v0, v1
	v_and_b32_e32 v127, 0xffff, v2
	v_mov_b32_e32 v5, v7
	s_delay_alu instid0(VALU_DEP_2)
	v_or_b32_e32 v11, 0x6c0, v127
	scratch_store_b64 off, v[5:6], off offset:64 ; 8-byte Folded Spill
	s_waitcnt lgkmcnt(0)
	s_load_b128 s[8:11], s[4:5], 0x0
	s_waitcnt lgkmcnt(0)
	v_mad_u64_u32 v[0:1], null, s10, v7, 0
	v_mad_u64_u32 v[3:4], null, s8, v127, 0
	s_mul_i32 s3, s9, 0xd8
	s_mul_hi_u32 s4, s8, 0xd8
	s_mul_i32 s2, s8, 0xd8
	s_add_i32 s3, s4, s3
	s_delay_alu instid0(VALU_DEP_2) | instskip(SKIP_4) | instid1(VALU_DEP_1)
	v_mad_u64_u32 v[5:6], null, s11, v7, v[1:2]
	s_mul_i32 s4, s9, 0x1b00
	s_load_b64 s[10:11], s[0:1], 0x0
	s_lshl_b64 s[12:13], s[2:3], 4
	s_mul_i32 s3, s9, 0xfffff8a4
	v_mad_u64_u32 v[6:7], null, s9, v127, v[4:5]
	v_mov_b32_e32 v1, v5
	v_mad_u64_u32 v[7:8], null, s8, v11, 0
	s_delay_alu instid0(VALU_DEP_2) | instskip(NEXT) | instid1(VALU_DEP_4)
	v_lshlrev_b64 v[0:1], 4, v[0:1]
	v_mov_b32_e32 v4, v6
	v_lshlrev_b32_e32 v160, 4, v127
	v_or_b32_e32 v17, 0x300, v127
	v_mad_u64_u32 v[9:10], null, s9, v11, v[8:9]
	s_delay_alu instid0(VALU_DEP_4)
	v_lshlrev_b64 v[3:4], 4, v[3:4]
	v_add_co_u32 v15, vcc_lo, s18, v0
	v_add_co_ci_u32_e32 v16, vcc_lo, s19, v1, vcc_lo
	s_waitcnt lgkmcnt(0)
	global_load_b128 v[55:58], v160, s[10:11]
	v_add_co_u32 v0, vcc_lo, v15, v3
	v_add_co_ci_u32_e32 v1, vcc_lo, v16, v4, vcc_lo
	v_dual_mov_b32 v8, v9 :: v_dual_lshlrev_b32 v9, 4, v11
	scratch_store_b32 off, v11, off offset:168 ; 4-byte Folded Spill
	global_load_b128 v[3:6], v[0:1], off
	v_mad_u64_u32 v[11:12], null, s8, v17, 0
	scratch_store_b32 off, v9, off offset:644 ; 4-byte Folded Spill
	v_lshlrev_b64 v[7:8], 4, v[7:8]
	v_add_co_u32 v123, s2, s10, v160
	s_delay_alu instid0(VALU_DEP_1) | instskip(SKIP_1) | instid1(VALU_DEP_4)
	v_add_co_ci_u32_e64 v124, null, s11, 0, s2
	v_mad_u64_u32 v[13:14], null, s9, v17, v[12:13]
	v_add_co_u32 v7, vcc_lo, v15, v7
	v_add_co_ci_u32_e32 v8, vcc_lo, v16, v8, vcc_lo
	global_load_b128 v[51:54], v9, s[10:11]
	global_load_b128 v[7:10], v[7:8], off
	v_dual_mov_b32 v12, v13 :: v_dual_lshlrev_b32 v13, 4, v17
	scratch_store_b32 off, v17, off offset:132 ; 4-byte Folded Spill
	s_mul_hi_u32 s2, s8, 0xfffff8a4
	v_lshlrev_b64 v[11:12], 4, v[11:12]
	scratch_store_b32 off, v13, off offset:636 ; 4-byte Folded Spill
	s_sub_i32 s5, s2, s8
	s_mul_i32 s2, s8, 0xfffff8a4
	s_add_i32 s3, s5, s3
	v_add_co_u32 v11, vcc_lo, v15, v11
	v_add_co_ci_u32_e32 v12, vcc_lo, v16, v12, vcc_lo
	global_load_b128 v[47:50], v13, s[10:11]
	global_load_b128 v[11:14], v[11:12], off
	v_add_co_u32 v0, vcc_lo, v0, s12
	v_add_co_ci_u32_e32 v1, vcc_lo, s13, v1, vcc_lo
	global_load_b128 v[79:82], v160, s[10:11] offset:3456
	global_load_b128 v[15:18], v[0:1], off
	v_add_co_u32 v95, vcc_lo, 0x1000, v123
	v_add_co_ci_u32_e32 v96, vcc_lo, 0, v124, vcc_lo
	v_add_co_u32 v0, vcc_lo, v0, s12
	v_add_co_ci_u32_e32 v1, vcc_lo, s13, v1, vcc_lo
	global_load_b128 v[67:70], v[95:96], off offset:2816
	global_load_b128 v[19:22], v[0:1], off
	v_add_co_u32 v99, vcc_lo, 0x2000, v123
	v_add_co_ci_u32_e32 v100, vcc_lo, 0, v124, vcc_lo
	v_add_co_u32 v0, vcc_lo, v0, s12
	v_add_co_ci_u32_e32 v1, vcc_lo, s13, v1, vcc_lo
	global_load_b128 v[59:62], v[99:100], off offset:2176
	;; [unrolled: 6-line block ×5, first 2 shown]
	global_load_b128 v[35:38], v[0:1], off
	v_add_co_u32 v0, vcc_lo, v0, s12
	v_add_co_ci_u32_e32 v1, vcc_lo, s13, v1, vcc_lo
	global_load_b128 v[83:86], v[111:112], off offset:3712
	global_load_b128 v[39:42], v[0:1], off
	v_add_co_u32 v119, vcc_lo, 0x7000, v123
	v_add_co_ci_u32_e32 v120, vcc_lo, 0, v124, vcc_lo
	s_lshl_b64 s[2:3], s[2:3], 4
	s_waitcnt vmcnt(19)
	scratch_store_b128 off, v[55:58], off offset:188 ; 16-byte Folded Spill
	s_waitcnt vmcnt(18)
	v_mul_f64 v[43:44], v[5:6], v[57:58]
	v_mul_f64 v[45:46], v[3:4], v[57:58]
	s_waitcnt vmcnt(17)
	scratch_store_b128 off, v[51:54], off offset:172 ; 16-byte Folded Spill
	s_waitcnt vmcnt(15)
	scratch_store_b128 off, v[47:50], off offset:144 ; 16-byte Folded Spill
	v_fma_f64 v[3:4], v[3:4], v[55:56], v[43:44]
	v_fma_f64 v[5:6], v[5:6], v[55:56], -v[45:46]
	v_mul_f64 v[43:44], v[9:10], v[53:54]
	v_mul_f64 v[45:46], v[7:8], v[53:54]
	s_waitcnt vmcnt(13)
	scratch_store_b128 off, v[79:82], off offset:284 ; 16-byte Folded Spill
	s_waitcnt vmcnt(11)
	scratch_store_b128 off, v[67:70], off offset:236 ; 16-byte Folded Spill
	;; [unrolled: 2-line block ×4, first 2 shown]
	v_fma_f64 v[7:8], v[7:8], v[51:52], v[43:44]
	v_fma_f64 v[9:10], v[9:10], v[51:52], -v[45:46]
	v_mul_f64 v[43:44], v[13:14], v[49:50]
	v_mul_f64 v[45:46], v[11:12], v[49:50]
	s_waitcnt vmcnt(5)
	scratch_store_b128 off, v[71:74], off offset:252 ; 16-byte Folded Spill
	s_waitcnt vmcnt(3)
	scratch_store_b128 off, v[75:78], off offset:268 ; 16-byte Folded Spill
	;; [unrolled: 2-line block ×3, first 2 shown]
	v_fma_f64 v[11:12], v[11:12], v[47:48], v[43:44]
	v_fma_f64 v[13:14], v[13:14], v[47:48], -v[45:46]
	v_mul_f64 v[43:44], v[17:18], v[81:82]
	v_mul_f64 v[45:46], v[15:16], v[81:82]
	v_mad_u64_u32 v[47:48], null, 0x1b00, s8, v[0:1]
	s_delay_alu instid0(VALU_DEP_1) | instskip(NEXT) | instid1(VALU_DEP_4)
	v_add_nc_u32_e32 v48, s4, v48
	v_fma_f64 v[15:16], v[15:16], v[79:80], v[43:44]
	s_delay_alu instid0(VALU_DEP_4) | instskip(SKIP_2) | instid1(VALU_DEP_2)
	v_fma_f64 v[17:18], v[17:18], v[79:80], -v[45:46]
	v_mul_f64 v[43:44], v[21:22], v[69:70]
	v_mul_f64 v[45:46], v[19:20], v[69:70]
	v_fma_f64 v[19:20], v[19:20], v[67:68], v[43:44]
	s_delay_alu instid0(VALU_DEP_2) | instskip(SKIP_2) | instid1(VALU_DEP_2)
	v_fma_f64 v[21:22], v[21:22], v[67:68], -v[45:46]
	v_mul_f64 v[43:44], v[25:26], v[61:62]
	v_mul_f64 v[45:46], v[23:24], v[61:62]
	v_fma_f64 v[23:24], v[23:24], v[59:60], v[43:44]
	s_delay_alu instid0(VALU_DEP_2) | instskip(SKIP_2) | instid1(VALU_DEP_2)
	;; [unrolled: 5-line block ×4, first 2 shown]
	v_fma_f64 v[33:34], v[33:34], v[71:72], -v[45:46]
	v_mul_f64 v[43:44], v[37:38], v[77:78]
	v_mul_f64 v[45:46], v[35:36], v[77:78]
	v_fma_f64 v[35:36], v[35:36], v[75:76], v[43:44]
	s_delay_alu instid0(VALU_DEP_2) | instskip(SKIP_3) | instid1(VALU_DEP_2)
	v_fma_f64 v[37:38], v[37:38], v[75:76], -v[45:46]
	s_waitcnt vmcnt(0)
	v_mul_f64 v[43:44], v[41:42], v[85:86]
	v_mul_f64 v[45:46], v[39:40], v[85:86]
	v_fma_f64 v[39:40], v[39:40], v[83:84], v[43:44]
	s_delay_alu instid0(VALU_DEP_2)
	v_fma_f64 v[41:42], v[41:42], v[83:84], -v[45:46]
	global_load_b128 v[51:54], v[119:120], off offset:2432
	global_load_b128 v[43:46], v[47:48], off
	s_waitcnt vmcnt(1)
	scratch_store_b128 off, v[51:54], off offset:524 ; 16-byte Folded Spill
	s_waitcnt vmcnt(0)
	v_mul_f64 v[0:1], v[45:46], v[53:54]
	v_mul_f64 v[49:50], v[43:44], v[53:54]
	s_delay_alu instid0(VALU_DEP_2) | instskip(SKIP_2) | instid1(VALU_DEP_4)
	v_fma_f64 v[43:44], v[43:44], v[51:52], v[0:1]
	v_add_co_u32 v0, vcc_lo, v47, s2
	v_add_co_ci_u32_e32 v1, vcc_lo, s3, v48, vcc_lo
	v_fma_f64 v[45:46], v[45:46], v[51:52], -v[49:50]
	global_load_b128 v[55:58], v160, s[10:11] offset:960
	global_load_b128 v[47:50], v[0:1], off
	v_add_co_u32 v0, vcc_lo, v0, s12
	v_add_co_ci_u32_e32 v1, vcc_lo, s13, v1, vcc_lo
	s_waitcnt vmcnt(1)
	scratch_store_b128 off, v[55:58], off offset:508 ; 16-byte Folded Spill
	s_waitcnt vmcnt(0)
	v_mul_f64 v[51:52], v[49:50], v[57:58]
	v_mul_f64 v[53:54], v[47:48], v[57:58]
	s_delay_alu instid0(VALU_DEP_2) | instskip(NEXT) | instid1(VALU_DEP_2)
	v_fma_f64 v[47:48], v[47:48], v[55:56], v[51:52]
	v_fma_f64 v[49:50], v[49:50], v[55:56], -v[53:54]
	global_load_b128 v[59:62], v[95:96], off offset:320
	global_load_b128 v[51:54], v[0:1], off
	v_add_co_u32 v0, vcc_lo, v0, s12
	v_add_co_ci_u32_e32 v1, vcc_lo, s13, v1, vcc_lo
	s_waitcnt vmcnt(1)
	scratch_store_b128 off, v[59:62], off offset:556 ; 16-byte Folded Spill
	s_waitcnt vmcnt(0)
	v_mul_f64 v[55:56], v[53:54], v[61:62]
	v_mul_f64 v[57:58], v[51:52], v[61:62]
	s_delay_alu instid0(VALU_DEP_2) | instskip(NEXT) | instid1(VALU_DEP_2)
	v_fma_f64 v[51:52], v[51:52], v[59:60], v[55:56]
	v_fma_f64 v[53:54], v[53:54], v[59:60], -v[57:58]
	global_load_b128 v[63:66], v[95:96], off offset:3776
	;; [unrolled: 12-line block ×6, first 2 shown]
	global_load_b128 v[71:74], v[0:1], off
	v_add_co_u32 v0, vcc_lo, v0, s12
	v_add_co_ci_u32_e32 v1, vcc_lo, s13, v1, vcc_lo
	v_add_co_u32 v115, vcc_lo, 0x6000, v123
	v_add_co_ci_u32_e32 v116, vcc_lo, 0, v124, vcc_lo
	s_waitcnt vmcnt(1)
	scratch_store_b128 off, v[79:82], off offset:476 ; 16-byte Folded Spill
	s_waitcnt vmcnt(0)
	v_mul_f64 v[75:76], v[73:74], v[81:82]
	v_mul_f64 v[77:78], v[71:72], v[81:82]
	s_delay_alu instid0(VALU_DEP_2) | instskip(NEXT) | instid1(VALU_DEP_2)
	v_fma_f64 v[71:72], v[71:72], v[79:80], v[75:76]
	v_fma_f64 v[73:74], v[73:74], v[79:80], -v[77:78]
	global_load_b128 v[83:86], v[115:116], off offset:576
	global_load_b128 v[75:78], v[0:1], off
	v_add_co_u32 v0, vcc_lo, v0, s12
	v_add_co_ci_u32_e32 v1, vcc_lo, s13, v1, vcc_lo
	s_waitcnt vmcnt(1)
	scratch_store_b128 off, v[83:86], off offset:492 ; 16-byte Folded Spill
	s_waitcnt vmcnt(0)
	v_mul_f64 v[79:80], v[77:78], v[85:86]
	v_mul_f64 v[81:82], v[75:76], v[85:86]
	s_delay_alu instid0(VALU_DEP_2) | instskip(NEXT) | instid1(VALU_DEP_2)
	v_fma_f64 v[75:76], v[75:76], v[83:84], v[79:80]
	v_fma_f64 v[77:78], v[77:78], v[83:84], -v[81:82]
	global_load_b128 v[87:90], v[115:116], off offset:4032
	global_load_b128 v[79:82], v[0:1], off
	;; [unrolled: 12-line block ×3, first 2 shown]
	v_add_co_u32 v0, vcc_lo, v0, s2
	v_add_co_ci_u32_e32 v1, vcc_lo, s3, v1, vcc_lo
	s_waitcnt vmcnt(1)
	scratch_store_b128 off, v[91:94], off offset:588 ; 16-byte Folded Spill
	s_waitcnt vmcnt(0)
	v_mul_f64 v[87:88], v[85:86], v[93:94]
	v_mul_f64 v[89:90], v[83:84], v[93:94]
	s_delay_alu instid0(VALU_DEP_2) | instskip(NEXT) | instid1(VALU_DEP_2)
	v_fma_f64 v[83:84], v[83:84], v[91:92], v[87:88]
	v_fma_f64 v[85:86], v[85:86], v[91:92], -v[89:90]
	global_load_b128 v[101:104], v160, s[10:11] offset:1920
	global_load_b128 v[87:90], v[0:1], off
	v_add_co_u32 v0, vcc_lo, v0, s12
	v_add_co_ci_u32_e32 v1, vcc_lo, s13, v1, vcc_lo
	scratch_store_b64 off, v[95:96], off offset:108 ; 8-byte Folded Spill
	s_waitcnt vmcnt(1)
	scratch_store_b128 off, v[101:104], off offset:540 ; 16-byte Folded Spill
	s_waitcnt vmcnt(0)
	v_mul_f64 v[91:92], v[89:90], v[103:104]
	v_mul_f64 v[93:94], v[87:88], v[103:104]
	s_delay_alu instid0(VALU_DEP_2) | instskip(NEXT) | instid1(VALU_DEP_2)
	v_fma_f64 v[87:88], v[87:88], v[101:102], v[91:92]
	v_fma_f64 v[89:90], v[89:90], v[101:102], -v[93:94]
	global_load_b128 v[101:104], v[95:96], off offset:1280
	global_load_b128 v[91:94], v[0:1], off
	v_add_co_u32 v0, vcc_lo, v0, s12
	v_add_co_ci_u32_e32 v1, vcc_lo, s13, v1, vcc_lo
	scratch_store_b64 off, v[99:100], off offset:100 ; 8-byte Folded Spill
	s_waitcnt vmcnt(1)
	scratch_store_b128 off, v[101:104], off offset:572 ; 16-byte Folded Spill
	s_waitcnt vmcnt(0)
	v_mul_f64 v[95:96], v[93:94], v[103:104]
	v_mul_f64 v[97:98], v[91:92], v[103:104]
	v_mad_u64_u32 v[103:104], null, 0x1b00, s8, v[0:1]
	s_delay_alu instid0(VALU_DEP_1) | instskip(NEXT) | instid1(VALU_DEP_4)
	v_add_nc_u32_e32 v104, s4, v104
	v_fma_f64 v[91:92], v[91:92], v[101:102], v[95:96]
	s_delay_alu instid0(VALU_DEP_4)
	v_fma_f64 v[93:94], v[93:94], v[101:102], -v[97:98]
	global_load_b128 v[128:131], v[99:100], off offset:640
	global_load_b128 v[95:98], v[0:1], off
	scratch_store_b64 off, v[105:106], off offset:92 ; 8-byte Folded Spill
	s_waitcnt vmcnt(1)
	scratch_store_b128 off, v[128:131], off offset:412 ; 16-byte Folded Spill
	s_waitcnt vmcnt(0)
	v_mul_f64 v[99:100], v[97:98], v[130:131]
	v_mul_f64 v[101:102], v[95:96], v[130:131]
	s_delay_alu instid0(VALU_DEP_2) | instskip(NEXT) | instid1(VALU_DEP_2)
	v_fma_f64 v[95:96], v[95:96], v[128:129], v[99:100]
	v_fma_f64 v[97:98], v[97:98], v[128:129], -v[101:102]
	global_load_b128 v[128:131], v[105:106], off offset:3456
	global_load_b128 v[99:102], v[103:104], off
	scratch_store_b64 off, v[107:108], off offset:84 ; 8-byte Folded Spill
	s_waitcnt vmcnt(1)
	scratch_store_b128 off, v[128:131], off offset:300 ; 16-byte Folded Spill
	s_waitcnt vmcnt(0)
	v_mul_f64 v[0:1], v[101:102], v[130:131]
	v_mul_f64 v[105:106], v[99:100], v[130:131]
	s_delay_alu instid0(VALU_DEP_2) | instskip(SKIP_2) | instid1(VALU_DEP_4)
	v_fma_f64 v[99:100], v[99:100], v[128:129], v[0:1]
	v_add_co_u32 v0, vcc_lo, v103, s12
	v_add_co_ci_u32_e32 v1, vcc_lo, s13, v104, vcc_lo
	v_fma_f64 v[101:102], v[101:102], v[128:129], -v[105:106]
	global_load_b128 v[128:131], v[107:108], off offset:2816
	global_load_b128 v[103:106], v[0:1], off
	v_add_co_u32 v0, vcc_lo, v0, s12
	v_add_co_ci_u32_e32 v1, vcc_lo, s13, v1, vcc_lo
	scratch_store_b64 off, v[111:112], off offset:76 ; 8-byte Folded Spill
	s_waitcnt vmcnt(1)
	scratch_store_b128 off, v[128:131], off offset:316 ; 16-byte Folded Spill
	s_waitcnt vmcnt(0)
	v_mul_f64 v[107:108], v[105:106], v[130:131]
	v_mul_f64 v[109:110], v[103:104], v[130:131]
	s_delay_alu instid0(VALU_DEP_2) | instskip(NEXT) | instid1(VALU_DEP_2)
	v_fma_f64 v[103:104], v[103:104], v[128:129], v[107:108]
	v_fma_f64 v[105:106], v[105:106], v[128:129], -v[109:110]
	global_load_b128 v[128:131], v[111:112], off offset:2176
	global_load_b128 v[107:110], v[0:1], off
	v_add_co_u32 v0, vcc_lo, v0, s12
	v_add_co_ci_u32_e32 v1, vcc_lo, s13, v1, vcc_lo
	scratch_store_b64 off, v[115:116], off offset:136 ; 8-byte Folded Spill
	s_waitcnt vmcnt(1)
	scratch_store_b128 off, v[128:131], off offset:348 ; 16-byte Folded Spill
	s_waitcnt vmcnt(0)
	v_mul_f64 v[111:112], v[109:110], v[130:131]
	v_mul_f64 v[113:114], v[107:108], v[130:131]
	s_delay_alu instid0(VALU_DEP_2) | instskip(NEXT) | instid1(VALU_DEP_2)
	v_fma_f64 v[107:108], v[107:108], v[128:129], v[111:112]
	;; [unrolled: 13-line block ×3, first 2 shown]
	v_fma_f64 v[113:114], v[113:114], v[128:129], -v[117:118]
	global_load_b128 v[128:131], v[119:120], off offset:896
	global_load_b128 v[115:118], v[0:1], off
	v_add_co_u32 v0, vcc_lo, v0, s12
	v_add_co_ci_u32_e32 v1, vcc_lo, s13, v1, vcc_lo
	s_waitcnt vmcnt(1)
	scratch_store_b128 off, v[128:131], off offset:380 ; 16-byte Folded Spill
	s_waitcnt vmcnt(0)
	v_mul_f64 v[119:120], v[117:118], v[130:131]
	v_mul_f64 v[121:122], v[115:116], v[130:131]
	s_delay_alu instid0(VALU_DEP_2)
	v_fma_f64 v[115:116], v[115:116], v[128:129], v[119:120]
	v_add_co_u32 v119, vcc_lo, 0x8000, v123
	v_add_co_ci_u32_e32 v120, vcc_lo, 0, v124, vcc_lo
	scratch_store_b64 off, v[123:124], off offset:124 ; 8-byte Folded Spill
	v_fma_f64 v[117:118], v[117:118], v[128:129], -v[121:122]
	v_cmp_gt_u16_e32 vcc_lo, 36, v2
	scratch_store_b64 off, v[119:120], off offset:160 ; 8-byte Folded Spill
	global_load_b128 v[128:131], v[119:120], off offset:256
	global_load_b128 v[119:122], v[0:1], off
	s_waitcnt vmcnt(1)
	scratch_store_b128 off, v[128:131], off offset:396 ; 16-byte Folded Spill
	s_waitcnt vmcnt(0)
	v_mul_f64 v[123:124], v[121:122], v[130:131]
	v_mul_f64 v[125:126], v[119:120], v[130:131]
	s_delay_alu instid0(VALU_DEP_2) | instskip(NEXT) | instid1(VALU_DEP_2)
	v_fma_f64 v[119:120], v[119:120], v[128:129], v[123:124]
	v_fma_f64 v[121:122], v[121:122], v[128:129], -v[125:126]
	ds_store_b128 v160, v[11:14] offset:12288
	ds_store_b128 v160, v[7:10] offset:27648
	ds_store_b128 v160, v[3:6]
	ds_store_b128 v160, v[15:18] offset:3456
	ds_store_b128 v160, v[19:22] offset:6912
	;; [unrolled: 1-line block ×27, first 2 shown]
	s_load_b64 s[8:9], s[0:1], 0x38
	s_load_b128 s[4:7], s[6:7], 0x0
	s_and_saveexec_b32 s14, vcc_lo
	s_cbranch_execz .LBB0_3
; %bb.2:
	v_add_co_u32 v4, s2, v0, s2
	s_delay_alu instid0(VALU_DEP_1)
	v_add_co_ci_u32_e64 v5, s2, s3, v1, s2
	scratch_load_b64 v[16:17], off, off offset:108 ; 8-byte Folded Reload
	v_add_co_u32 v8, s2, v4, s12
	global_load_b128 v[0:3], v[4:5], off
	v_add_co_ci_u32_e64 v9, s2, s13, v5, s2
	scratch_load_b64 v[4:5], off, off offset:124 ; 8-byte Folded Reload
	v_add_co_u32 v12, s2, v8, s12
	s_delay_alu instid0(VALU_DEP_1) | instskip(SKIP_2) | instid1(VALU_DEP_1)
	v_add_co_ci_u32_e64 v13, s2, s13, v9, s2
	global_load_b128 v[8:11], v[8:9], off
	v_add_co_u32 v24, s2, v12, s12
	v_add_co_ci_u32_e64 v25, s2, s13, v13, s2
	global_load_b128 v[12:15], v[12:13], off
	v_add_co_u32 v28, s2, v24, s12
	s_delay_alu instid0(VALU_DEP_1) | instskip(NEXT) | instid1(VALU_DEP_2)
	v_add_co_ci_u32_e64 v29, s2, s13, v25, s2
	v_add_co_u32 v40, s2, v28, s12
	s_delay_alu instid0(VALU_DEP_1) | instskip(NEXT) | instid1(VALU_DEP_2)
	v_add_co_ci_u32_e64 v41, s2, s13, v29, s2
	;; [unrolled: 3-line block ×5, first 2 shown]
	v_add_co_u32 v76, s2, v64, s12
	s_delay_alu instid0(VALU_DEP_1)
	v_add_co_ci_u32_e64 v77, s2, s13, v65, s2
	s_waitcnt vmcnt(2)
	s_clause 0x1
	global_load_b128 v[4:7], v[4:5], off offset:2880
	global_load_b128 v[16:19], v[16:17], off offset:2240
	scratch_load_b64 v[20:21], off, off offset:100 ; 8-byte Folded Reload
	global_load_b128 v[24:27], v[24:25], off
	s_waitcnt vmcnt(2)
	v_mul_f64 v[82:83], v[10:11], v[18:19]
	s_waitcnt vmcnt(1)
	global_load_b128 v[20:23], v[20:21], off offset:1600
	global_load_b128 v[28:31], v[28:29], off
	scratch_load_b64 v[32:33], off, off offset:92 ; 8-byte Folded Reload
	v_mul_f64 v[80:81], v[2:3], v[6:7]
	v_mul_f64 v[6:7], v[0:1], v[6:7]
	;; [unrolled: 1-line block ×3, first 2 shown]
	s_waitcnt vmcnt(0)
	global_load_b128 v[32:35], v[32:33], off offset:960
	scratch_load_b64 v[50:51], off, off offset:84 ; 8-byte Folded Reload
	v_mul_f64 v[84:85], v[14:15], v[22:23]
	v_mul_f64 v[22:23], v[12:13], v[22:23]
	v_fma_f64 v[0:1], v[0:1], v[4:5], v[80:81]
	v_fma_f64 v[2:3], v[2:3], v[4:5], -v[6:7]
	v_fma_f64 v[4:5], v[8:9], v[16:17], v[82:83]
	v_fma_f64 v[6:7], v[10:11], v[16:17], -v[18:19]
	s_waitcnt vmcnt(0)
	global_load_b128 v[36:39], v[50:51], off offset:320
	global_load_b128 v[40:43], v[40:41], off
	global_load_b128 v[44:47], v[48:49], off
	global_load_b128 v[48:51], v[50:51], off offset:3776
	s_clause 0x1
	scratch_load_b64 v[52:53], off, off offset:76
	scratch_load_b64 v[60:61], off, off offset:136
	global_load_b128 v[56:59], v[56:57], off
	v_mul_f64 v[86:87], v[26:27], v[34:35]
	v_mul_f64 v[34:35], v[24:25], v[34:35]
	v_fma_f64 v[8:9], v[12:13], v[20:21], v[84:85]
	v_fma_f64 v[10:11], v[14:15], v[20:21], -v[22:23]
	s_delay_alu instid0(VALU_DEP_4) | instskip(NEXT) | instid1(VALU_DEP_4)
	v_fma_f64 v[12:13], v[24:25], v[32:33], v[86:87]
	v_fma_f64 v[14:15], v[26:27], v[32:33], -v[34:35]
	s_waitcnt vmcnt(6)
	v_mul_f64 v[88:89], v[30:31], v[38:39]
	v_mul_f64 v[38:39], v[28:29], v[38:39]
	s_waitcnt vmcnt(3)
	v_mul_f64 v[90:91], v[42:43], v[50:51]
	s_waitcnt vmcnt(2)
	global_load_b128 v[52:55], v[52:53], off offset:3136
	s_waitcnt vmcnt(2)
	global_load_b128 v[60:63], v[60:61], off offset:2496
	global_load_b128 v[64:67], v[64:65], off
	scratch_load_b64 v[68:69], off, off offset:116 ; 8-byte Folded Reload
	v_mul_f64 v[50:51], v[40:41], v[50:51]
	s_waitcnt vmcnt(0)
	global_load_b128 v[68:71], v[68:69], off offset:1856
	scratch_load_b64 v[72:73], off, off offset:160 ; 8-byte Folded Reload
	v_mul_f64 v[92:93], v[46:47], v[54:55]
	v_mul_f64 v[54:55], v[44:45], v[54:55]
	;; [unrolled: 1-line block ×4, first 2 shown]
	v_fma_f64 v[16:17], v[28:29], v[36:37], v[88:89]
	v_fma_f64 v[18:19], v[30:31], v[36:37], -v[38:39]
	v_fma_f64 v[20:21], v[40:41], v[48:49], v[90:91]
	v_fma_f64 v[22:23], v[42:43], v[48:49], -v[50:51]
	s_waitcnt vmcnt(0)
	global_load_b128 v[72:75], v[72:73], off offset:1216
	global_load_b128 v[76:79], v[76:77], off
	v_mul_f64 v[96:97], v[66:67], v[70:71]
	v_mul_f64 v[70:71], v[64:65], v[70:71]
	v_fma_f64 v[24:25], v[44:45], v[52:53], v[92:93]
	v_fma_f64 v[26:27], v[46:47], v[52:53], -v[54:55]
	v_fma_f64 v[28:29], v[56:57], v[60:61], v[94:95]
	v_fma_f64 v[30:31], v[58:59], v[60:61], -v[62:63]
	;; [unrolled: 2-line block ×3, first 2 shown]
	s_waitcnt vmcnt(0)
	v_mul_f64 v[98:99], v[78:79], v[74:75]
	v_mul_f64 v[74:75], v[76:77], v[74:75]
	s_delay_alu instid0(VALU_DEP_2) | instskip(NEXT) | instid1(VALU_DEP_2)
	v_fma_f64 v[36:37], v[76:77], v[72:73], v[98:99]
	v_fma_f64 v[38:39], v[78:79], v[72:73], -v[74:75]
	ds_store_b128 v160, v[4:7] offset:6336
	ds_store_b128 v160, v[8:11] offset:9792
	;; [unrolled: 1-line block ×10, first 2 shown]
.LBB0_3:
	s_or_b32 exec_lo, exec_lo, s14
	scratch_store_b32 off, v127, off offset:72 ; 4-byte Folded Spill
	s_waitcnt lgkmcnt(0)
	s_waitcnt_vscnt null, 0x0
	s_barrier
	buffer_gl0_inv
	ds_load_b128 v[124:127], v160 offset:3456
	ds_load_b128 v[96:99], v160 offset:4416
	;; [unrolled: 1-line block ×28, first 2 shown]
	ds_load_b128 v[156:159], v160
	ds_load_b128 v[40:43], v160 offset:33024
	s_load_b64 s[2:3], s[0:1], 0x8
                                        ; implicit-def: $vgpr28_vgpr29
                                        ; implicit-def: $vgpr204_vgpr205
                                        ; implicit-def: $vgpr4_vgpr5
                                        ; implicit-def: $vgpr8_vgpr9
                                        ; implicit-def: $vgpr12_vgpr13
                                        ; implicit-def: $vgpr16_vgpr17
                                        ; implicit-def: $vgpr20_vgpr21
                                        ; implicit-def: $vgpr24_vgpr25
                                        ; implicit-def: $vgpr32_vgpr33
                                        ; implicit-def: $vgpr36_vgpr37
	s_and_saveexec_b32 s0, vcc_lo
	s_cbranch_execz .LBB0_5
; %bb.4:
	ds_load_b128 v[204:207], v160 offset:6336
	ds_load_b128 v[4:7], v160 offset:9792
	;; [unrolled: 1-line block ×10, first 2 shown]
.LBB0_5:
	s_or_b32 exec_lo, exec_lo, s0
	s_waitcnt lgkmcnt(0)
	v_add_f64 v[178:179], v[158:159], v[150:151]
	v_add_f64 v[176:177], v[156:157], v[148:149]
	;; [unrolled: 1-line block ×5, first 2 shown]
	v_add_f64 v[170:171], v[146:147], -v[142:143]
	v_add_f64 v[0:1], v[148:149], -v[152:153]
	;; [unrolled: 1-line block ×9, first 2 shown]
	v_add_f64 v[222:223], v[96:97], v[92:93]
	v_add_f64 v[224:225], v[98:99], v[94:95]
	v_add_f64 v[216:217], v[92:93], -v[88:89]
	v_add_f64 v[220:221], v[94:95], -v[90:91]
	;; [unrolled: 1-line block ×5, first 2 shown]
	v_add_f64 v[232:233], v[70:71], v[62:63]
	v_add_f64 v[234:235], v[70:71], -v[62:63]
	v_add_f64 v[240:241], v[70:71], -v[74:75]
	;; [unrolled: 1-line block ×3, first 2 shown]
	s_mov_b32 s16, 0x134454ff
	s_mov_b32 s17, 0x3fee6f0e
	;; [unrolled: 1-line block ×12, first 2 shown]
	v_add_f64 v[250:251], v[72:73], -v[64:65]
	v_add_f64 v[178:179], v[178:179], v[154:155]
	v_add_f64 v[176:177], v[176:177], v[152:153]
	v_fma_f64 v[162:163], v[161:162], -0.5, v[156:157]
	v_fma_f64 v[166:167], v[164:165], -0.5, v[156:157]
	v_add_f64 v[156:157], v[150:151], -v[142:143]
	v_add_f64 v[164:165], v[154:155], v[146:147]
	v_fma_f64 v[168:169], v[168:169], -0.5, v[158:159]
	scratch_store_b64 off, v[0:1], off offset:32 ; 8-byte Folded Spill
	v_add_f64 v[0:1], v[152:153], -v[148:149]
	v_add_f64 v[148:149], v[148:149], -v[140:141]
	;; [unrolled: 1-line block ×4, first 2 shown]
	v_add_f64 v[2:3], v[188:189], v[2:3]
	v_add_f64 v[252:253], v[60:61], -v[64:65]
	v_add_f64 v[222:223], v[222:223], v[88:89]
	v_add_f64 v[224:225], v[224:225], v[90:91]
	v_add_f64 v[254:255], v[64:65], -v[60:61]
	v_add_f64 v[244:245], v[62:63], -v[66:67]
	v_fma_f64 v[232:233], v[232:233], -0.5, v[78:79]
	v_add_f64 v[178:179], v[178:179], v[146:147]
	v_add_f64 v[180:181], v[176:177], v[144:145]
	v_add_f64 v[176:177], v[142:143], -v[146:147]
	v_fma_f64 v[164:165], v[164:165], -0.5, v[158:159]
	v_add_f64 v[158:159], v[140:141], -v[144:145]
	v_add_f64 v[144:145], v[130:131], -v[138:139]
	scratch_store_b64 off, v[0:1], off      ; 8-byte Folded Spill
	v_add_f64 v[0:1], v[154:155], -v[150:151]
	v_add_f64 v[150:151], v[154:155], -v[146:147]
	;; [unrolled: 1-line block ×4, first 2 shown]
	v_add_f64 v[226:227], v[222:223], v[84:85]
	v_add_f64 v[228:229], v[224:225], v[86:87]
	v_add_f64 v[222:223], v[80:81], -v[84:85]
	v_add_f64 v[224:225], v[82:83], -v[86:87]
	v_add_f64 v[196:197], v[178:179], v[142:143]
	v_add_f64 v[142:143], v[130:131], v[122:123]
	;; [unrolled: 1-line block ×4, first 2 shown]
	v_add_f64 v[180:181], v[136:137], -v[132:133]
	v_add_f64 v[178:179], v[138:139], -v[134:135]
	v_add_f64 v[174:175], v[174:175], v[176:177]
	v_add_f64 v[188:189], v[144:145], v[208:209]
	scratch_store_b64 off, v[0:1], off offset:16 ; 8-byte Folded Spill
	v_add_f64 v[0:1], v[66:67], -v[62:63]
	v_add_f64 v[154:155], v[154:155], v[190:191]
	v_add_f64 v[176:177], v[146:147], v[192:193]
	;; [unrolled: 1-line block ×5, first 2 shown]
	v_fma_f64 v[182:183], v[142:143], -0.5, v[126:127]
	v_add_f64 v[142:143], v[128:129], v[120:121]
	v_fma_f64 v[140:141], v[140:141], -0.5, v[124:125]
	v_add_f64 v[0:1], v[246:247], v[0:1]
	;; [unrolled: 2-line block ×4, first 2 shown]
	v_add_f64 v[124:125], v[124:125], v[128:129]
	s_delay_alu instid0(VALU_DEP_4) | instskip(NEXT) | instid1(VALU_DEP_3)
	v_add_f64 v[70:71], v[78:79], v[74:75]
	v_fma_f64 v[142:143], v[142:143], -0.5, v[126:127]
	v_add_f64 v[126:127], v[126:127], v[130:131]
	s_delay_alu instid0(VALU_DEP_4)
	v_add_f64 v[124:125], v[124:125], v[136:137]
	v_add_f64 v[136:137], v[130:131], -v[122:123]
	v_add_f64 v[130:131], v[108:109], -v[116:117]
	v_add_f64 v[70:71], v[70:71], v[66:67]
	v_add_f64 v[126:127], v[126:127], v[138:139]
	;; [unrolled: 1-line block ×3, first 2 shown]
	v_add_f64 v[138:139], v[128:129], -v[120:121]
	v_add_f64 v[128:129], v[116:117], -v[108:109]
	;; [unrolled: 1-line block ×3, first 2 shown]
	v_add_f64 v[202:203], v[70:71], v[62:63]
	v_add_f64 v[126:127], v[126:127], v[134:135]
	v_add_f64 v[210:211], v[124:125], v[120:121]
	v_add_f64 v[120:121], v[116:117], v[104:105]
	v_fma_f64 v[70:71], v[138:139], s[18:19], v[142:143]
	s_delay_alu instid0(VALU_DEP_4)
	v_add_f64 v[212:213], v[126:127], v[122:123]
	v_add_f64 v[122:123], v[108:109], v[100:101]
	;; [unrolled: 1-line block ×3, first 2 shown]
	v_fma_f64 v[120:121], v[120:121], -0.5, v[112:113]
	v_fma_f64 v[70:71], v[180:181], s[12:13], v[70:71]
	v_add_f64 v[62:63], v[196:197], v[212:213]
	v_fma_f64 v[124:125], v[122:123], -0.5, v[112:113]
	v_add_f64 v[122:123], v[118:119], v[106:107]
	v_fma_f64 v[126:127], v[126:127], -0.5, v[114:115]
	v_add_f64 v[112:113], v[112:113], v[108:109]
	v_add_f64 v[108:109], v[108:109], -v[100:101]
	v_fma_f64 v[70:71], v[188:189], s[14:15], v[70:71]
	v_add_f64 v[66:67], v[196:197], -v[212:213]
	v_add_f64 v[196:197], v[220:221], v[224:225]
	v_fma_f64 v[122:123], v[122:123], -0.5, v[114:115]
	v_add_f64 v[114:115], v[114:115], v[110:111]
	v_add_f64 v[134:135], v[112:113], v[116:117]
	v_add_f64 v[112:113], v[118:119], -v[106:107]
	s_delay_alu instid0(VALU_DEP_3)
	v_add_f64 v[198:199], v[114:115], v[118:119]
	v_add_f64 v[114:115], v[116:117], -v[104:105]
	v_add_f64 v[116:117], v[118:119], -v[110:111]
	;; [unrolled: 1-line block ×3, first 2 shown]
	v_add_f64 v[200:201], v[134:135], v[104:105]
	v_add_f64 v[134:135], v[102:103], -v[106:107]
	v_add_f64 v[118:119], v[100:101], -v[104:105]
	;; [unrolled: 1-line block ×3, first 2 shown]
	v_add_f64 v[198:199], v[198:199], v[106:107]
	v_add_f64 v[106:107], v[106:107], -v[102:103]
	v_add_f64 v[218:219], v[200:201], v[100:101]
	v_add_f64 v[100:101], v[88:89], v[84:85]
	;; [unrolled: 1-line block ×10, first 2 shown]
	v_fma_f64 v[100:101], v[100:101], -0.5, v[96:97]
	v_fma_f64 v[200:201], v[200:201], -0.5, v[98:99]
	s_delay_alu instid0(VALU_DEP_4)
	v_fma_f64 v[198:199], v[102:103], -0.5, v[96:97]
	v_add_f64 v[102:103], v[90:91], v[86:87]
	v_add_f64 v[96:97], v[94:95], -v[82:83]
	v_add_f64 v[94:95], v[90:91], -v[94:95]
	v_add_f64 v[90:91], v[90:91], -v[86:87]
	v_add_f64 v[86:87], v[86:87], -v[82:83]
	v_add_f64 v[82:83], v[68:69], v[60:61]
	v_fma_f64 v[102:103], v[102:103], -0.5, v[98:99]
	v_add_f64 v[98:99], v[88:89], -v[92:93]
	v_add_f64 v[92:93], v[92:93], -v[80:81]
	;; [unrolled: 1-line block ×4, first 2 shown]
	v_add_f64 v[80:81], v[72:73], v[64:65]
	v_fma_f64 v[82:83], v[82:83], -0.5, v[76:77]
	v_add_f64 v[94:95], v[94:95], v[86:87]
	s_delay_alu instid0(VALU_DEP_4) | instskip(NEXT) | instid1(VALU_DEP_4)
	v_add_f64 v[98:99], v[98:99], v[84:85]
	v_fma_f64 v[80:81], v[80:81], -0.5, v[76:77]
	v_add_f64 v[76:77], v[76:77], v[68:69]
	s_delay_alu instid0(VALU_DEP_1) | instskip(NEXT) | instid1(VALU_DEP_1)
	v_add_f64 v[68:69], v[76:77], v[72:73]
	v_add_f64 v[68:69], v[68:69], v[64:65]
	v_add_f64 v[64:65], v[194:195], -v[210:211]
	s_delay_alu instid0(VALU_DEP_2)
	v_add_f64 v[186:187], v[68:69], v[60:61]
	scratch_load_b64 v[68:69], off, off offset:32 ; 8-byte Folded Reload
	v_add_f64 v[60:61], v[194:195], v[210:211]
	v_add_f64 v[194:195], v[216:217], v[222:223]
	s_waitcnt vmcnt(0)
	v_add_f64 v[158:159], v[68:69], v[158:159]
	v_fma_f64 v[68:69], v[136:137], s[16:17], v[140:141]
	s_delay_alu instid0(VALU_DEP_1) | instskip(NEXT) | instid1(VALU_DEP_1)
	v_fma_f64 v[68:69], v[178:179], s[0:1], v[68:69]
	v_fma_f64 v[68:69], v[2:3], s[14:15], v[68:69]
	s_delay_alu instid0(VALU_DEP_1) | instskip(SKIP_1) | instid1(VALU_DEP_2)
	v_mul_f64 v[72:73], v[68:69], s[20:21]
	v_mul_f64 v[68:69], v[68:69], s[12:13]
	v_fma_f64 v[72:73], v[70:71], s[0:1], v[72:73]
	s_delay_alu instid0(VALU_DEP_2) | instskip(SKIP_2) | instid1(VALU_DEP_2)
	v_fma_f64 v[74:75], v[70:71], s[20:21], v[68:69]
	v_fma_f64 v[68:69], v[156:157], s[16:17], v[162:163]
	;; [unrolled: 1-line block ×4, first 2 shown]
	s_delay_alu instid0(VALU_DEP_2) | instskip(NEXT) | instid1(VALU_DEP_2)
	v_fma_f64 v[70:71], v[152:153], s[12:13], v[70:71]
	v_fma_f64 v[76:77], v[158:159], s[14:15], v[68:69]
	s_delay_alu instid0(VALU_DEP_2) | instskip(NEXT) | instid1(VALU_DEP_2)
	v_fma_f64 v[78:79], v[174:175], s[14:15], v[70:71]
	v_add_f64 v[68:69], v[76:77], v[72:73]
	v_add_f64 v[72:73], v[76:77], -v[72:73]
	scratch_load_b64 v[76:77], off, off     ; 8-byte Folded Reload
	v_add_f64 v[70:71], v[78:79], v[74:75]
	v_add_f64 v[74:75], v[78:79], -v[74:75]
	v_fma_f64 v[78:79], v[178:179], s[18:19], v[184:185]
	v_fma_f64 v[184:185], v[178:179], s[16:17], v[184:185]
	s_delay_alu instid0(VALU_DEP_2) | instskip(NEXT) | instid1(VALU_DEP_2)
	v_fma_f64 v[78:79], v[136:137], s[0:1], v[78:79]
	v_fma_f64 v[184:185], v[136:137], s[12:13], v[184:185]
	;; [unrolled: 1-line block ×4, first 2 shown]
	v_add_f64 v[161:162], v[56:57], -v[48:49]
	v_fma_f64 v[78:79], v[154:155], s[14:15], v[78:79]
	v_fma_f64 v[154:155], v[154:155], s[14:15], v[184:185]
	;; [unrolled: 1-line block ×4, first 2 shown]
	v_add_f64 v[178:179], v[48:49], -v[40:41]
	v_add_f64 v[184:185], v[42:43], -v[46:47]
	s_delay_alu instid0(VALU_DEP_4) | instskip(NEXT) | instid1(VALU_DEP_4)
	v_fma_f64 v[2:3], v[2:3], s[14:15], v[136:137]
	v_fma_f64 v[140:141], v[158:159], s[14:15], v[140:141]
	v_add_f64 v[158:159], v[48:49], -v[56:57]
	s_waitcnt vmcnt(0)
	v_add_f64 v[172:173], v[76:77], v[172:173]
	scratch_load_b64 v[76:77], off, off offset:16 ; 8-byte Folded Reload
	s_waitcnt vmcnt(0)
	v_add_f64 v[170:171], v[76:77], v[170:171]
	v_fma_f64 v[76:77], v[180:181], s[16:17], v[182:183]
	v_fma_f64 v[182:183], v[180:181], s[18:19], v[182:183]
	s_delay_alu instid0(VALU_DEP_2) | instskip(NEXT) | instid1(VALU_DEP_2)
	v_fma_f64 v[76:77], v[138:139], s[12:13], v[76:77]
	v_fma_f64 v[182:183], v[138:139], s[0:1], v[182:183]
	;; [unrolled: 1-line block ×4, first 2 shown]
	v_add_f64 v[163:164], v[50:51], -v[58:59]
	v_fma_f64 v[76:77], v[176:177], s[14:15], v[76:77]
	v_fma_f64 v[176:177], v[176:177], s[14:15], v[182:183]
	;; [unrolled: 1-line block ×4, first 2 shown]
	v_add_f64 v[180:181], v[40:41], -v[44:45]
	v_add_f64 v[163:164], v[163:164], v[184:185]
	v_mul_f64 v[144:145], v[76:77], s[16:17]
	v_fma_f64 v[136:137], v[188:189], s[14:15], v[138:139]
	v_mul_f64 v[138:139], v[2:3], s[20:21]
	v_fma_f64 v[142:143], v[174:175], s[14:15], v[142:143]
	v_add_f64 v[174:175], v[58:59], -v[50:51]
	v_add_f64 v[158:159], v[158:159], v[180:181]
	v_add_f64 v[188:189], v[46:47], -v[42:43]
	v_fma_f64 v[144:145], v[78:79], s[14:15], v[144:145]
	v_mul_f64 v[78:79], v[78:79], s[18:19]
	s_delay_alu instid0(VALU_DEP_1) | instskip(SKIP_4) | instid1(VALU_DEP_4)
	v_fma_f64 v[146:147], v[76:77], s[14:15], v[78:79]
	v_fma_f64 v[76:77], v[150:151], s[18:19], v[166:167]
	;; [unrolled: 1-line block ×4, first 2 shown]
	v_add_f64 v[150:151], v[50:51], v[42:43]
	v_fma_f64 v[76:77], v[156:157], s[0:1], v[76:77]
	s_delay_alu instid0(VALU_DEP_4) | instskip(NEXT) | instid1(VALU_DEP_4)
	v_fma_f64 v[166:167], v[156:157], s[12:13], v[166:167]
	v_fma_f64 v[78:79], v[148:149], s[12:13], v[78:79]
	s_delay_alu instid0(VALU_DEP_4)
	v_fma_f64 v[150:151], v[150:151], -0.5, v[54:55]
	v_add_f64 v[156:157], v[56:57], -v[44:45]
	v_fma_f64 v[190:191], v[172:173], s[14:15], v[76:77]
	v_fma_f64 v[172:173], v[172:173], s[14:15], v[166:167]
	;; [unrolled: 1-line block ×3, first 2 shown]
	v_add_f64 v[152:153], v[58:59], v[46:47]
	v_fma_f64 v[192:193], v[170:171], s[14:15], v[78:79]
	v_add_f64 v[76:77], v[190:191], v[144:145]
	v_add_f64 v[144:145], v[190:191], -v[144:145]
	v_fma_f64 v[166:167], v[148:149], s[0:1], v[166:167]
	v_fma_f64 v[148:149], v[136:137], s[0:1], -v[138:139]
	v_mul_f64 v[136:137], v[136:137], s[20:21]
	v_fma_f64 v[152:153], v[152:153], -0.5, v[54:55]
	v_add_f64 v[54:55], v[54:55], v[50:51]
	v_add_f64 v[78:79], v[192:193], v[146:147]
	v_add_f64 v[146:147], v[192:193], -v[146:147]
	v_fma_f64 v[182:183], v[170:171], s[14:15], v[166:167]
	v_mul_f64 v[166:167], v[154:155], s[14:15]
	v_fma_f64 v[2:3], v[2:3], s[12:13], -v[136:137]
	v_add_f64 v[136:137], v[140:141], v[148:149]
	v_add_f64 v[140:141], v[140:141], -v[148:149]
	v_add_f64 v[148:149], v[48:49], v[40:41]
	v_add_f64 v[54:55], v[54:55], v[58:59]
	v_fma_f64 v[170:171], v[176:177], s[16:17], -v[166:167]
	v_add_f64 v[138:139], v[142:143], v[2:3]
	v_add_f64 v[142:143], v[142:143], -v[2:3]
	v_add_f64 v[2:3], v[56:57], v[44:45]
	v_fma_f64 v[148:149], v[148:149], -0.5, v[52:53]
	v_mul_f64 v[166:167], v[176:177], s[14:15]
	v_add_f64 v[176:177], v[50:51], -v[42:43]
	v_add_f64 v[50:51], v[54:55], v[46:47]
	v_fma_f64 v[2:3], v[2:3], -0.5, v[52:53]
	v_add_f64 v[52:53], v[52:53], v[48:49]
	v_fma_f64 v[154:155], v[154:155], s[18:19], -v[166:167]
	v_add_f64 v[166:167], v[172:173], v[170:171]
	v_add_f64 v[192:193], v[50:51], v[42:43]
	v_fma_f64 v[50:51], v[92:93], s[18:19], v[102:103]
	v_add_f64 v[170:171], v[172:173], -v[170:171]
	v_add_f64 v[42:43], v[214:215], v[228:229]
	v_add_f64 v[52:53], v[52:53], v[56:57]
	;; [unrolled: 1-line block ×3, first 2 shown]
	v_add_f64 v[172:173], v[182:183], -v[154:155]
	v_add_f64 v[154:155], v[58:59], -v[46:47]
	v_fma_f64 v[50:51], v[88:89], s[12:13], v[50:51]
	v_add_f64 v[182:183], v[44:45], -v[40:41]
	v_add_f64 v[46:47], v[214:215], -v[228:229]
	v_add_f64 v[48:49], v[52:53], v[44:45]
	v_add_f64 v[44:45], v[218:219], -v[230:231]
	v_fma_f64 v[50:51], v[196:197], s[14:15], v[50:51]
	s_delay_alu instid0(VALU_DEP_3) | instskip(SKIP_2) | instid1(VALU_DEP_2)
	v_add_f64 v[190:191], v[48:49], v[40:41]
	v_fma_f64 v[48:49], v[96:97], s[16:17], v[100:101]
	v_add_f64 v[40:41], v[218:219], v[230:231]
	v_fma_f64 v[48:49], v[90:91], s[0:1], v[48:49]
	s_delay_alu instid0(VALU_DEP_1) | instskip(NEXT) | instid1(VALU_DEP_1)
	v_fma_f64 v[48:49], v[194:195], s[14:15], v[48:49]
	v_mul_f64 v[52:53], v[48:49], s[20:21]
	v_mul_f64 v[48:49], v[48:49], s[12:13]
	s_delay_alu instid0(VALU_DEP_2) | instskip(NEXT) | instid1(VALU_DEP_2)
	v_fma_f64 v[52:53], v[50:51], s[0:1], v[52:53]
	v_fma_f64 v[54:55], v[50:51], s[20:21], v[48:49]
	;; [unrolled: 1-line block ×4, first 2 shown]
	s_delay_alu instid0(VALU_DEP_2) | instskip(NEXT) | instid1(VALU_DEP_2)
	v_fma_f64 v[48:49], v[112:113], s[0:1], v[48:49]
	v_fma_f64 v[50:51], v[114:115], s[12:13], v[50:51]
	s_delay_alu instid0(VALU_DEP_2) | instskip(NEXT) | instid1(VALU_DEP_2)
	v_fma_f64 v[56:57], v[130:131], s[14:15], v[48:49]
	v_fma_f64 v[58:59], v[132:133], s[14:15], v[50:51]
	s_delay_alu instid0(VALU_DEP_2) | instskip(SKIP_2) | instid1(VALU_DEP_4)
	v_add_f64 v[48:49], v[56:57], v[52:53]
	v_add_f64 v[52:53], v[56:57], -v[52:53]
	v_fma_f64 v[56:57], v[88:89], s[16:17], v[200:201]
	v_add_f64 v[50:51], v[58:59], v[54:55]
	v_add_f64 v[54:55], v[58:59], -v[54:55]
	v_fma_f64 v[58:59], v[90:91], s[18:19], v[198:199]
	s_delay_alu instid0(VALU_DEP_4) | instskip(NEXT) | instid1(VALU_DEP_2)
	v_fma_f64 v[56:57], v[92:93], s[12:13], v[56:57]
	v_fma_f64 v[58:59], v[96:97], s[0:1], v[58:59]
	s_delay_alu instid0(VALU_DEP_2) | instskip(NEXT) | instid1(VALU_DEP_2)
	v_fma_f64 v[56:57], v[94:95], s[14:15], v[56:57]
	v_fma_f64 v[58:59], v[98:99], s[14:15], v[58:59]
	s_delay_alu instid0(VALU_DEP_2) | instskip(NEXT) | instid1(VALU_DEP_1)
	v_mul_f64 v[84:85], v[56:57], s[16:17]
	v_fma_f64 v[84:85], v[58:59], s[14:15], v[84:85]
	v_mul_f64 v[58:59], v[58:59], s[18:19]
	s_delay_alu instid0(VALU_DEP_1) | instskip(SKIP_2) | instid1(VALU_DEP_2)
	v_fma_f64 v[86:87], v[56:57], s[14:15], v[58:59]
	v_fma_f64 v[56:57], v[112:113], s[18:19], v[124:125]
	;; [unrolled: 1-line block ×4, first 2 shown]
	s_delay_alu instid0(VALU_DEP_2) | instskip(NEXT) | instid1(VALU_DEP_2)
	v_fma_f64 v[58:59], v[108:109], s[12:13], v[58:59]
	v_fma_f64 v[116:117], v[104:105], s[14:15], v[56:57]
	s_delay_alu instid0(VALU_DEP_2) | instskip(NEXT) | instid1(VALU_DEP_2)
	v_fma_f64 v[118:119], v[106:107], s[14:15], v[58:59]
	v_add_f64 v[56:57], v[116:117], v[84:85]
	v_add_f64 v[84:85], v[116:117], -v[84:85]
	v_fma_f64 v[116:117], v[90:91], s[16:17], v[198:199]
	s_delay_alu instid0(VALU_DEP_4) | instskip(SKIP_1) | instid1(VALU_DEP_3)
	v_add_f64 v[58:59], v[118:119], v[86:87]
	v_add_f64 v[86:87], v[118:119], -v[86:87]
	v_fma_f64 v[116:117], v[96:97], s[12:13], v[116:117]
	s_delay_alu instid0(VALU_DEP_1) | instskip(SKIP_1) | instid1(VALU_DEP_1)
	v_fma_f64 v[98:99], v[98:99], s[14:15], v[116:117]
	v_fma_f64 v[116:117], v[88:89], s[18:19], v[200:201]
	;; [unrolled: 1-line block ×4, first 2 shown]
	v_add_f64 v[102:103], v[202:203], -v[192:193]
	s_delay_alu instid0(VALU_DEP_3) | instskip(SKIP_1) | instid1(VALU_DEP_4)
	v_fma_f64 v[94:95], v[94:95], s[14:15], v[116:117]
	v_fma_f64 v[116:117], v[112:113], s[16:17], v[124:125]
	;; [unrolled: 1-line block ×3, first 2 shown]
	s_delay_alu instid0(VALU_DEP_2) | instskip(NEXT) | instid1(VALU_DEP_2)
	v_fma_f64 v[116:117], v[110:111], s[12:13], v[116:117]
	v_fma_f64 v[88:89], v[196:197], s[14:15], v[88:89]
	s_delay_alu instid0(VALU_DEP_2) | instskip(SKIP_1) | instid1(VALU_DEP_1)
	v_fma_f64 v[116:117], v[104:105], s[14:15], v[116:117]
	v_fma_f64 v[104:105], v[114:115], s[18:19], v[126:127]
	;; [unrolled: 1-line block ×3, first 2 shown]
	s_delay_alu instid0(VALU_DEP_1) | instskip(SKIP_1) | instid1(VALU_DEP_1)
	v_fma_f64 v[118:119], v[106:107], s[14:15], v[104:105]
	v_mul_f64 v[104:105], v[98:99], s[14:15]
	v_fma_f64 v[124:125], v[94:95], s[16:17], -v[104:105]
	v_mul_f64 v[94:95], v[94:95], s[14:15]
	s_delay_alu instid0(VALU_DEP_2) | instskip(NEXT) | instid1(VALU_DEP_2)
	v_add_f64 v[104:105], v[116:117], v[124:125]
	v_fma_f64 v[94:95], v[98:99], s[18:19], -v[94:95]
	v_fma_f64 v[98:99], v[108:109], s[16:17], v[122:123]
	v_fma_f64 v[108:109], v[176:177], s[16:17], v[2:3]
	v_add_f64 v[116:117], v[116:117], -v[124:125]
	s_delay_alu instid0(VALU_DEP_4)
	v_add_f64 v[106:107], v[118:119], v[94:95]
	v_add_f64 v[118:119], v[118:119], -v[94:95]
	v_fma_f64 v[94:95], v[96:97], s[18:19], v[100:101]
	v_fma_f64 v[96:97], v[110:111], s[18:19], v[120:121]
	;; [unrolled: 1-line block ×4, first 2 shown]
	v_add_f64 v[100:101], v[186:187], -v[190:191]
	v_fma_f64 v[90:91], v[90:91], s[12:13], v[94:95]
	v_fma_f64 v[92:93], v[112:113], s[12:13], v[96:97]
	;; [unrolled: 1-line block ×7, first 2 shown]
	v_mul_f64 v[112:113], v[108:109], s[20:21]
	v_fma_f64 v[110:111], v[163:164], s[14:15], v[110:111]
	v_mul_f64 v[108:109], v[108:109], s[12:13]
	v_fma_f64 v[94:95], v[132:133], s[14:15], v[94:95]
	v_add_f64 v[132:133], v[174:175], v[188:189]
	v_add_f64 v[130:131], v[161:162], v[182:183]
	v_mul_f64 v[96:97], v[90:91], s[20:21]
	v_fma_f64 v[112:113], v[110:111], s[0:1], v[112:113]
	v_fma_f64 v[114:115], v[110:111], s[20:21], v[108:109]
	;; [unrolled: 1-line block ×4, first 2 shown]
	v_fma_f64 v[96:97], v[88:89], s[0:1], -v[96:97]
	v_mul_f64 v[88:89], v[88:89], s[20:21]
	s_delay_alu instid0(VALU_DEP_4) | instskip(NEXT) | instid1(VALU_DEP_4)
	v_fma_f64 v[108:109], v[248:249], s[0:1], v[108:109]
	v_fma_f64 v[110:111], v[250:251], s[12:13], v[110:111]
	s_delay_alu instid0(VALU_DEP_3)
	v_fma_f64 v[98:99], v[90:91], s[12:13], -v[88:89]
	v_add_f64 v[88:89], v[92:93], v[96:97]
	v_add_f64 v[92:93], v[92:93], -v[96:97]
	v_add_f64 v[96:97], v[186:187], v[190:191]
	v_add_f64 v[186:187], v[236:237], v[252:253]
	;; [unrolled: 1-line block ×4, first 2 shown]
	v_add_f64 v[94:95], v[94:95], -v[98:99]
	v_add_f64 v[98:99], v[202:203], v[192:193]
	v_fma_f64 v[120:121], v[186:187], s[14:15], v[108:109]
	v_fma_f64 v[122:123], v[190:191], s[14:15], v[110:111]
	s_delay_alu instid0(VALU_DEP_2) | instskip(SKIP_2) | instid1(VALU_DEP_4)
	v_add_f64 v[108:109], v[120:121], v[112:113]
	v_add_f64 v[112:113], v[120:121], -v[112:113]
	v_fma_f64 v[120:121], v[156:157], s[16:17], v[150:151]
	v_add_f64 v[110:111], v[122:123], v[114:115]
	v_add_f64 v[114:115], v[122:123], -v[114:115]
	v_fma_f64 v[122:123], v[154:155], s[18:19], v[148:149]
	s_delay_alu instid0(VALU_DEP_4) | instskip(NEXT) | instid1(VALU_DEP_2)
	v_fma_f64 v[120:121], v[178:179], s[12:13], v[120:121]
	v_fma_f64 v[122:123], v[176:177], s[0:1], v[122:123]
	s_delay_alu instid0(VALU_DEP_2) | instskip(NEXT) | instid1(VALU_DEP_2)
	v_fma_f64 v[120:121], v[132:133], s[14:15], v[120:121]
	v_fma_f64 v[122:123], v[130:131], s[14:15], v[122:123]
	s_delay_alu instid0(VALU_DEP_2) | instskip(NEXT) | instid1(VALU_DEP_1)
	v_mul_f64 v[124:125], v[120:121], s[16:17]
	v_fma_f64 v[124:125], v[122:123], s[14:15], v[124:125]
	v_mul_f64 v[122:123], v[122:123], s[18:19]
	s_delay_alu instid0(VALU_DEP_1) | instskip(SKIP_3) | instid1(VALU_DEP_3)
	v_fma_f64 v[126:127], v[120:121], s[14:15], v[122:123]
	v_fma_f64 v[120:121], v[248:249], s[18:19], v[82:83]
	;; [unrolled: 1-line block ×5, first 2 shown]
	s_delay_alu instid0(VALU_DEP_3) | instskip(NEXT) | instid1(VALU_DEP_3)
	v_fma_f64 v[82:83], v[234:235], s[12:13], v[82:83]
	v_fma_f64 v[122:123], v[242:243], s[12:13], v[122:123]
	s_delay_alu instid0(VALU_DEP_3) | instskip(NEXT) | instid1(VALU_DEP_3)
	v_fma_f64 v[134:135], v[128:129], s[14:15], v[120:121]
	v_fma_f64 v[82:83], v[128:129], s[14:15], v[82:83]
	;; [unrolled: 1-line block ×3, first 2 shown]
	s_delay_alu instid0(VALU_DEP_4) | instskip(NEXT) | instid1(VALU_DEP_4)
	v_fma_f64 v[161:162], v[0:1], s[14:15], v[122:123]
	v_add_f64 v[120:121], v[134:135], v[124:125]
	v_add_f64 v[124:125], v[134:135], -v[124:125]
	s_delay_alu instid0(VALU_DEP_4) | instskip(NEXT) | instid1(VALU_DEP_4)
	v_fma_f64 v[128:129], v[176:177], s[12:13], v[128:129]
	v_add_f64 v[122:123], v[161:162], v[126:127]
	v_add_f64 v[126:127], v[161:162], -v[126:127]
	s_delay_alu instid0(VALU_DEP_3) | instskip(SKIP_1) | instid1(VALU_DEP_1)
	v_fma_f64 v[128:129], v[130:131], s[14:15], v[128:129]
	v_fma_f64 v[130:131], v[156:157], s[18:19], v[150:151]
	;; [unrolled: 1-line block ×3, first 2 shown]
	s_delay_alu instid0(VALU_DEP_1) | instskip(SKIP_1) | instid1(VALU_DEP_1)
	v_fma_f64 v[130:131], v[132:133], s[14:15], v[130:131]
	v_fma_f64 v[132:133], v[250:251], s[18:19], v[232:233]
	;; [unrolled: 1-line block ×3, first 2 shown]
	s_delay_alu instid0(VALU_DEP_1) | instskip(SKIP_1) | instid1(VALU_DEP_1)
	v_fma_f64 v[0:1], v[0:1], s[14:15], v[132:133]
	v_mul_f64 v[132:133], v[128:129], s[14:15]
	v_fma_f64 v[132:133], v[130:131], s[16:17], -v[132:133]
	v_mul_f64 v[130:131], v[130:131], s[14:15]
	s_delay_alu instid0(VALU_DEP_1) | instskip(NEXT) | instid1(VALU_DEP_3)
	v_fma_f64 v[134:135], v[128:129], s[18:19], -v[130:131]
	v_add_f64 v[128:129], v[82:83], v[132:133]
	v_add_f64 v[132:133], v[82:83], -v[132:133]
	v_fma_f64 v[82:83], v[242:243], s[16:17], v[226:227]
	scratch_load_b32 v226, off, off offset:72 ; 4-byte Folded Reload
	s_waitcnt vmcnt(0)
	s_waitcnt_vscnt null, 0x0
	s_barrier
	buffer_gl0_inv
	v_add_f64 v[130:131], v[0:1], v[134:135]
	v_add_f64 v[134:135], v[0:1], -v[134:135]
	v_fma_f64 v[0:1], v[176:177], s[18:19], v[2:3]
	v_fma_f64 v[2:3], v[234:235], s[18:19], v[80:81]
	;; [unrolled: 1-line block ×4, first 2 shown]
	s_delay_alu instid0(VALU_DEP_4) | instskip(NEXT) | instid1(VALU_DEP_4)
	v_fma_f64 v[0:1], v[154:155], s[12:13], v[0:1]
	v_fma_f64 v[2:3], v[248:249], s[12:13], v[2:3]
	s_delay_alu instid0(VALU_DEP_4) | instskip(NEXT) | instid1(VALU_DEP_4)
	v_fma_f64 v[80:81], v[156:157], s[0:1], v[80:81]
	v_fma_f64 v[150:151], v[190:191], s[14:15], v[82:83]
	;; [unrolled: 3-line block ×3, first 2 shown]
	s_delay_alu instid0(VALU_DEP_4) | instskip(NEXT) | instid1(VALU_DEP_3)
	v_fma_f64 v[80:81], v[163:164], s[14:15], v[80:81]
	v_mul_f64 v[82:83], v[0:1], s[20:21]
	s_delay_alu instid0(VALU_DEP_1) | instskip(SKIP_1) | instid1(VALU_DEP_1)
	v_fma_f64 v[148:149], v[80:81], s[0:1], -v[82:83]
	v_mul_f64 v[80:81], v[80:81], s[20:21]
	v_fma_f64 v[0:1], v[0:1], s[12:13], -v[80:81]
	s_delay_alu instid0(VALU_DEP_3) | instskip(SKIP_2) | instid1(VALU_DEP_4)
	v_add_f64 v[80:81], v[2:3], v[148:149]
	v_add_f64 v[148:149], v[2:3], -v[148:149]
	v_add_f64 v[2:3], v[8:9], v[36:37]
	v_add_f64 v[82:83], v[150:151], v[0:1]
	v_add_f64 v[150:151], v[150:151], -v[0:1]
	s_delay_alu instid0(VALU_DEP_3) | instskip(SKIP_3) | instid1(VALU_DEP_3)
	v_fma_f64 v[2:3], v[2:3], -0.5, v[204:205]
	v_mul_lo_u16 v0, v226, 10
	v_add_co_u32 v212, s22, v226, 60
	v_add_co_u32 v190, null, 0x78, v226
	v_and_b32_e32 v0, 0xffff, v0
	v_add_co_u32 v191, null, 0xb4, v226
	s_delay_alu instid0(VALU_DEP_2)
	v_lshlrev_b32_e32 v0, 4, v0
	ds_store_b128 v0, v[60:63]
	ds_store_b128 v0, v[68:71] offset:16
	ds_store_b128 v0, v[76:79] offset:32
	;; [unrolled: 1-line block ×8, first 2 shown]
	v_mov_b32_e32 v227, v0
	ds_store_b128 v0, v[140:143] offset:144
	v_mul_u32_u24_e32 v0, 10, v212
	v_add_f64 v[62:63], v[18:19], -v[10:11]
	v_add_f64 v[64:65], v[26:27], -v[38:39]
	;; [unrolled: 1-line block ×3, first 2 shown]
	v_add_f64 v[68:69], v[12:13], v[20:21]
	v_lshlrev_b32_e32 v60, 4, v0
	ds_store_b128 v60, v[40:43]
	ds_store_b128 v60, v[48:51] offset:16
	ds_store_b128 v60, v[56:59] offset:32
	;; [unrolled: 1-line block ×4, first 2 shown]
	v_add_f64 v[0:1], v[16:17], v[24:25]
	v_add_f64 v[40:41], v[10:11], v[38:39]
	ds_store_b128 v60, v[44:47] offset:80
	ds_store_b128 v60, v[52:55] offset:96
	v_add_f64 v[42:43], v[18:19], v[26:27]
	v_add_f64 v[44:45], v[10:11], -v[38:39]
	v_add_f64 v[46:47], v[18:19], -v[26:27]
	;; [unrolled: 1-line block ×5, first 2 shown]
	v_mul_u32_u24_e32 v54, 10, v190
	ds_store_b128 v60, v[84:87] offset:112
	ds_store_b128 v60, v[116:119] offset:128
	scratch_store_b32 off, v60, off offset:652 ; 4-byte Folded Spill
	ds_store_b128 v60, v[92:95] offset:144
	v_lshlrev_b32_e32 v161, 4, v54
	v_add_f64 v[56:57], v[16:17], -v[8:9]
	v_add_f64 v[58:59], v[24:25], -v[36:37]
	;; [unrolled: 1-line block ×5, first 2 shown]
	ds_store_b128 v161, v[80:83] offset:64
	ds_store_b128 v161, v[100:103] offset:80
	ds_store_b128 v161, v[96:99]
	ds_store_b128 v161, v[108:111] offset:16
	ds_store_b128 v161, v[120:123] offset:32
	;; [unrolled: 1-line block ×4, first 2 shown]
	v_add_f64 v[62:63], v[62:63], v[64:65]
	v_fma_f64 v[68:69], v[68:69], -0.5, v[28:29]
	v_fma_f64 v[0:1], v[0:1], -0.5, v[204:205]
	;; [unrolled: 1-line block ×4, first 2 shown]
	v_fma_f64 v[60:61], v[46:47], s[18:19], v[2:3]
	v_fma_f64 v[2:3], v[46:47], s[16:17], v[2:3]
	v_add_f64 v[50:51], v[50:51], v[52:53]
	v_add_f64 v[56:57], v[56:57], v[58:59]
	v_add_f64 v[58:59], v[38:39], -v[26:27]
	v_fma_f64 v[54:55], v[44:45], s[16:17], v[0:1]
	v_fma_f64 v[0:1], v[44:45], s[18:19], v[0:1]
	;; [unrolled: 1-line block ×8, first 2 shown]
	v_add_f64 v[44:45], v[4:5], v[32:33]
	v_fma_f64 v[54:55], v[46:47], s[0:1], v[54:55]
	v_fma_f64 v[0:1], v[46:47], s[12:13], v[0:1]
	v_add_f64 v[46:47], v[10:11], -v[18:19]
	v_fma_f64 v[52:53], v[66:67], s[12:13], v[52:53]
	v_fma_f64 v[40:41], v[66:67], s[0:1], v[40:41]
	v_add_f64 v[66:67], v[6:7], -v[34:35]
	v_fma_f64 v[64:65], v[48:49], s[0:1], v[64:65]
	v_fma_f64 v[42:43], v[48:49], s[12:13], v[42:43]
	v_fma_f64 v[44:45], v[44:45], -0.5, v[28:29]
	v_add_f64 v[48:49], v[32:33], -v[20:21]
	v_fma_f64 v[2:3], v[56:57], s[14:15], v[2:3]
	v_fma_f64 v[60:61], v[56:57], s[14:15], v[60:61]
	;; [unrolled: 1-line block ×4, first 2 shown]
	v_add_f64 v[46:47], v[46:47], v[58:59]
	v_add_f64 v[58:59], v[14:15], -v[22:23]
	v_add_f64 v[50:51], v[4:5], -v[12:13]
	v_fma_f64 v[54:55], v[66:67], s[16:17], v[68:69]
	v_fma_f64 v[56:57], v[66:67], s[18:19], v[68:69]
	;; [unrolled: 1-line block ×6, first 2 shown]
	v_add_f64 v[48:49], v[50:51], v[48:49]
	v_add_f64 v[50:51], v[12:13], -v[4:5]
	v_fma_f64 v[44:45], v[58:59], s[16:17], v[44:45]
	v_fma_f64 v[54:55], v[58:59], s[0:1], v[54:55]
	;; [unrolled: 1-line block ×3, first 2 shown]
	v_add_f64 v[58:59], v[20:21], -v[32:33]
	v_fma_f64 v[64:65], v[46:47], s[14:15], v[42:43]
	v_mul_f64 v[42:43], v[70:71], s[20:21]
	v_fma_f64 v[62:63], v[66:67], s[0:1], v[40:41]
	v_add_f64 v[40:41], v[22:23], -v[34:35]
	v_fma_f64 v[66:67], v[66:67], s[12:13], v[44:45]
	v_add_f64 v[44:45], v[6:7], v[34:35]
	v_add_f64 v[50:51], v[50:51], v[58:59]
	v_add_f64 v[58:59], v[14:15], -v[6:7]
	v_fma_f64 v[42:43], v[64:65], s[0:1], v[42:43]
	s_delay_alu instid0(VALU_DEP_4) | instskip(NEXT) | instid1(VALU_DEP_4)
	v_fma_f64 v[44:45], v[44:45], -0.5, v[30:31]
	v_fma_f64 v[46:47], v[50:51], s[14:15], v[66:67]
	s_delay_alu instid0(VALU_DEP_4) | instskip(SKIP_1) | instid1(VALU_DEP_4)
	v_add_f64 v[58:59], v[58:59], v[40:41]
	v_add_f64 v[40:41], v[14:15], v[22:23]
	v_fma_f64 v[74:75], v[72:73], s[16:17], v[44:45]
	v_fma_f64 v[44:45], v[72:73], s[18:19], v[44:45]
	s_delay_alu instid0(VALU_DEP_3) | instskip(NEXT) | instid1(VALU_DEP_3)
	v_fma_f64 v[40:41], v[40:41], -0.5, v[30:31]
	v_fma_f64 v[74:75], v[76:77], s[12:13], v[74:75]
	s_delay_alu instid0(VALU_DEP_2) | instskip(SKIP_3) | instid1(VALU_DEP_4)
	v_fma_f64 v[78:79], v[76:77], s[18:19], v[40:41]
	v_fma_f64 v[40:41], v[76:77], s[16:17], v[40:41]
	;; [unrolled: 1-line block ×3, first 2 shown]
	v_add_f64 v[44:45], v[6:7], -v[14:15]
	v_fma_f64 v[78:79], v[72:73], s[12:13], v[78:79]
	s_delay_alu instid0(VALU_DEP_4) | instskip(SKIP_1) | instid1(VALU_DEP_4)
	v_fma_f64 v[72:73], v[72:73], s[0:1], v[40:41]
	v_fma_f64 v[40:41], v[48:49], s[14:15], v[54:55]
	v_add_f64 v[84:85], v[44:45], v[84:85]
	v_fma_f64 v[44:45], v[50:51], s[14:15], v[62:63]
	v_mul_f64 v[50:51], v[70:71], s[12:13]
	v_fma_f64 v[48:49], v[48:49], s[14:15], v[56:57]
	v_fma_f64 v[54:55], v[58:59], s[14:15], v[74:75]
	;; [unrolled: 1-line block ×3, first 2 shown]
	s_delay_alu instid0(VALU_DEP_4) | instskip(SKIP_2) | instid1(VALU_DEP_2)
	v_fma_f64 v[56:57], v[64:65], s[20:21], v[50:51]
	v_mul_f64 v[50:51], v[52:53], s[16:17]
	v_fma_f64 v[64:65], v[84:85], s[14:15], v[78:79]
	v_fma_f64 v[50:51], v[60:61], s[14:15], v[50:51]
	v_mul_f64 v[60:61], v[60:61], s[18:19]
	s_delay_alu instid0(VALU_DEP_2) | instskip(NEXT) | instid1(VALU_DEP_2)
	v_add_f64 v[74:75], v[44:45], -v[50:51]
	v_fma_f64 v[62:63], v[52:53], s[14:15], v[60:61]
	v_mul_f64 v[60:61], v[68:69], s[14:15]
	v_mul_f64 v[52:53], v[2:3], s[14:15]
	s_delay_alu instid0(VALU_DEP_3) | instskip(NEXT) | instid1(VALU_DEP_3)
	v_add_f64 v[76:77], v[54:55], -v[62:63]
	v_fma_f64 v[66:67], v[2:3], s[18:19], -v[60:61]
	v_mul_f64 v[2:3], v[0:1], s[20:21]
	s_delay_alu instid0(VALU_DEP_4) | instskip(SKIP_1) | instid1(VALU_DEP_3)
	v_fma_f64 v[52:53], v[68:69], s[16:17], -v[52:53]
	v_fma_f64 v[68:69], v[84:85], s[14:15], v[72:73]
	v_fma_f64 v[60:61], v[86:87], s[0:1], -v[2:3]
	v_mul_f64 v[2:3], v[86:87], s[20:21]
	s_delay_alu instid0(VALU_DEP_4) | instskip(NEXT) | instid1(VALU_DEP_3)
	v_add_f64 v[72:73], v[46:47], -v[52:53]
	v_add_f64 v[78:79], v[48:49], -v[60:61]
	s_delay_alu instid0(VALU_DEP_3) | instskip(SKIP_2) | instid1(VALU_DEP_3)
	v_fma_f64 v[70:71], v[0:1], s[12:13], -v[2:3]
	v_add_f64 v[0:1], v[40:41], -v[42:43]
	v_add_f64 v[2:3], v[64:65], -v[56:57]
	;; [unrolled: 1-line block ×3, first 2 shown]
	scratch_store_b128 off, v[74:77], off offset:32 ; 16-byte Folded Spill
	v_add_f64 v[74:75], v[58:59], -v[66:67]
	scratch_store_b128 off, v[0:3], off     ; 16-byte Folded Spill
	v_add_co_ci_u32_e64 v0, null, 0, 0, s22
	v_mul_u32_u24_e32 v0, 10, v191
	s_clause 0x2
	scratch_store_b32 off, v0, off offset:2008
	scratch_store_b128 off, v[78:81], off offset:48
	scratch_store_b128 off, v[72:75], off offset:16
	ds_store_b128 v161, v[124:127] offset:112
	ds_store_b128 v161, v[132:135] offset:128
	;; [unrolled: 1-line block ×3, first 2 shown]
	s_and_saveexec_b32 s0, vcc_lo
	s_cbranch_execz .LBB0_7
; %bb.6:
	v_add_f64 v[0:1], v[30:31], v[6:7]
	v_add_f64 v[2:3], v[206:207], v[10:11]
	v_add_f64 v[4:5], v[28:29], v[4:5]
	v_add_f64 v[6:7], v[204:205], v[8:9]
	v_add_f64 v[10:11], v[54:55], v[62:63]
	v_add_f64 v[8:9], v[44:45], v[50:51]
	v_add_f64 v[0:1], v[0:1], v[14:15]
	v_add_f64 v[2:3], v[2:3], v[18:19]
	v_add_f64 v[4:5], v[4:5], v[12:13]
	v_add_f64 v[6:7], v[6:7], v[16:17]
	v_add_f64 v[14:15], v[64:65], v[56:57]
	v_add_f64 v[12:13], v[40:41], v[42:43]
	v_add_f64 v[0:1], v[0:1], v[22:23]
	v_add_f64 v[2:3], v[2:3], v[26:27]
	v_add_f64 v[4:5], v[4:5], v[20:21]
	v_add_f64 v[6:7], v[6:7], v[24:25]
	s_delay_alu instid0(VALU_DEP_4) | instskip(NEXT) | instid1(VALU_DEP_4)
	v_add_f64 v[20:21], v[0:1], v[34:35]
	v_add_f64 v[22:23], v[2:3], v[38:39]
	s_delay_alu instid0(VALU_DEP_4) | instskip(NEXT) | instid1(VALU_DEP_4)
	v_add_f64 v[24:25], v[4:5], v[32:33]
	v_add_f64 v[26:27], v[6:7], v[36:37]
	;; [unrolled: 1-line block ×7, first 2 shown]
	v_add_f64 v[22:23], v[20:21], -v[22:23]
	v_add_f64 v[16:17], v[24:25], v[26:27]
	v_add_f64 v[20:21], v[24:25], -v[26:27]
	scratch_load_b128 v[25:28], off, off    ; 16-byte Folded Reload
	v_mul_u32_u24_e32 v24, 10, v191
	s_delay_alu instid0(VALU_DEP_1)
	v_lshlrev_b32_e32 v24, 4, v24
	s_waitcnt vmcnt(0)
	ds_store_b128 v24, v[25:28] offset:96
	scratch_load_b128 v[25:28], off, off offset:32 ; 16-byte Folded Reload
	s_waitcnt vmcnt(0)
	ds_store_b128 v24, v[25:28] offset:112
	ds_store_b128 v24, v[8:11] offset:32
	;; [unrolled: 1-line block ×3, first 2 shown]
	ds_store_b128 v24, v[16:19]
	ds_store_b128 v24, v[12:15] offset:16
	ds_store_b128 v24, v[0:3] offset:64
	ds_store_b128 v24, v[20:23] offset:80
	scratch_load_b128 v[0:3], off, off offset:16 ; 16-byte Folded Reload
	s_waitcnt vmcnt(0)
	ds_store_b128 v24, v[0:3] offset:128
	scratch_load_b128 v[0:3], off, off offset:48 ; 16-byte Folded Reload
	s_waitcnt vmcnt(0)
	ds_store_b128 v24, v[0:3] offset:144
.LBB0_7:
	s_or_b32 exec_lo, exec_lo, s0
	v_and_b32_e32 v0, 0xff, v226
	s_waitcnt lgkmcnt(0)
	s_waitcnt_vscnt null, 0x0
	s_barrier
	buffer_gl0_inv
	v_and_b32_e32 v2, 0xff, v212
	v_mul_lo_u16 v0, 0xcd, v0
	v_and_b32_e32 v192, 0xff, v190
	v_and_b32_e32 v197, 0xff, v191
	v_add_nc_u32_e32 v193, 0xf0, v226
	v_mul_lo_u16 v2, 0xcd, v2
	v_lshrrev_b16 v208, 11, v0
	v_add_nc_u32_e32 v195, 0x12c, v226
	s_mov_b32 s14, 0xe8584caa
	v_and_b32_e32 v194, 0xffff, v193
	v_lshrrev_b16 v206, 11, v2
	v_mul_lo_u16 v0, v208, 10
	v_and_b32_e32 v196, 0xffff, v195
	v_and_b32_e32 v208, 0xffff, v208
	s_mov_b32 s15, 0x3febb67a
	v_mul_lo_u16 v2, v206, 10
	v_sub_nc_u16 v0, v226, v0
	s_mov_b32 s13, 0xbfebb67a
	v_mul_u32_u24_e32 v208, 60, v208
	s_mov_b32 s12, s14
	v_sub_nc_u16 v2, v212, v2
	v_and_b32_e32 v209, 0xff, v0
	s_delay_alu instid0(VALU_DEP_2) | instskip(NEXT) | instid1(VALU_DEP_2)
	v_and_b32_e32 v207, 0xff, v2
	v_mad_u64_u32 v[0:1], null, 0x50, v209, s[2:3]
	v_add_lshl_u32 v225, v208, v209, 4
	s_clause 0x4
	global_load_b128 v[72:75], v[0:1], off
	global_load_b128 v[86:89], v[0:1], off offset:16
	global_load_b128 v[82:85], v[0:1], off offset:32
	;; [unrolled: 1-line block ×4, first 2 shown]
	v_mad_u64_u32 v[0:1], null, 0x50, v207, s[2:3]
	s_clause 0x4
	global_load_b128 v[54:57], v[0:1], off
	global_load_b128 v[60:63], v[0:1], off offset:16
	global_load_b128 v[68:71], v[0:1], off offset:32
	;; [unrolled: 1-line block ×4, first 2 shown]
	v_mul_lo_u16 v0, 0xcd, v192
	s_delay_alu instid0(VALU_DEP_1) | instskip(NEXT) | instid1(VALU_DEP_1)
	v_lshrrev_b16 v198, 11, v0
	v_mul_lo_u16 v0, v198, 10
	s_delay_alu instid0(VALU_DEP_1) | instskip(NEXT) | instid1(VALU_DEP_1)
	v_sub_nc_u16 v0, v190, v0
	v_and_b32_e32 v199, 0xff, v0
	s_delay_alu instid0(VALU_DEP_1)
	v_mad_u64_u32 v[28:29], null, 0x50, v199, s[2:3]
	global_load_b128 v[120:123], v[28:29], off
	ds_load_b128 v[0:3], v160 offset:5760
	ds_load_b128 v[4:7], v160 offset:11520
	;; [unrolled: 1-line block ×7, first 2 shown]
	s_waitcnt vmcnt(10) lgkmcnt(6)
	v_mul_f64 v[30:31], v[2:3], v[74:75]
	v_mul_f64 v[32:33], v[0:1], v[74:75]
	s_waitcnt vmcnt(9) lgkmcnt(5)
	v_mul_f64 v[34:35], v[6:7], v[88:89]
	v_mul_f64 v[36:37], v[4:5], v[88:89]
	s_clause 0x1
	scratch_store_b128 off, v[72:75], off offset:768
	scratch_store_b128 off, v[86:89], off offset:752
	s_waitcnt vmcnt(8) lgkmcnt(4)
	v_mul_f64 v[38:39], v[10:11], v[84:85]
	v_mul_f64 v[40:41], v[8:9], v[84:85]
	scratch_store_b128 off, v[82:85], off offset:736 ; 16-byte Folded Spill
	s_waitcnt vmcnt(7)
	scratch_store_b128 off, v[76:79], off offset:720 ; 16-byte Folded Spill
	s_waitcnt vmcnt(6)
	;; [unrolled: 2-line block ×4, first 2 shown]
	s_clause 0x2
	scratch_store_b128 off, v[92:95], off offset:816
	scratch_store_b128 off, v[60:63], off offset:672
	;; [unrolled: 1-line block ×3, first 2 shown]
	s_waitcnt vmcnt(1)
	scratch_store_b128 off, v[98:101], off offset:784 ; 16-byte Folded Spill
	v_fma_f64 v[66:67], v[0:1], v[72:73], -v[30:31]
	v_fma_f64 v[74:75], v[2:3], v[72:73], v[32:33]
	ds_load_b128 v[0:3], v160 offset:18240
	s_waitcnt lgkmcnt(4)
	v_mul_f64 v[42:43], v[14:15], v[78:79]
	v_mul_f64 v[44:45], v[12:13], v[78:79]
	v_fma_f64 v[80:81], v[4:5], v[86:87], -v[34:35]
	v_fma_f64 v[88:89], v[6:7], v[86:87], v[36:37]
	ds_load_b128 v[4:7], v160 offset:24000
	s_waitcnt lgkmcnt(4)
	v_mul_f64 v[46:47], v[18:19], v[52:53]
	s_waitcnt vmcnt(0)
	scratch_store_b128 off, v[120:123], off offset:800 ; 16-byte Folded Spill
	v_mul_f64 v[48:49], v[16:17], v[52:53]
	v_fma_f64 v[104:105], v[8:9], v[82:83], -v[38:39]
	v_fma_f64 v[96:97], v[10:11], v[82:83], v[40:41]
	ds_load_b128 v[8:11], v160 offset:29760
	v_fma_f64 v[106:107], v[12:13], v[76:77], -v[42:43]
	v_fma_f64 v[114:115], v[14:15], v[76:77], v[44:45]
	s_waitcnt lgkmcnt(2)
	v_mul_f64 v[12:13], v[2:3], v[70:71]
	v_mul_f64 v[14:15], v[0:1], v[70:71]
	v_fma_f64 v[118:119], v[16:17], v[50:51], -v[46:47]
	s_waitcnt lgkmcnt(1)
	v_mul_f64 v[16:17], v[6:7], v[94:95]
	v_fma_f64 v[116:117], v[18:19], v[50:51], v[48:49]
	v_mul_f64 v[18:19], v[4:5], v[94:95]
	v_fma_f64 v[82:83], v[0:1], v[68:69], -v[12:13]
	v_fma_f64 v[72:73], v[2:3], v[68:69], v[14:15]
	ds_load_b128 v[0:3], v160 offset:7680
	s_waitcnt lgkmcnt(1)
	v_mul_f64 v[12:13], v[10:11], v[100:101]
	v_fma_f64 v[90:91], v[4:5], v[92:93], -v[16:17]
	v_mul_f64 v[14:15], v[8:9], v[100:101]
	v_fma_f64 v[92:93], v[6:7], v[92:93], v[18:19]
	v_mul_f64 v[30:31], v[22:23], v[56:57]
	v_mul_f64 v[32:33], v[20:21], v[56:57]
	s_waitcnt lgkmcnt(0)
	v_mul_f64 v[6:7], v[0:1], v[122:123]
	v_mul_f64 v[4:5], v[2:3], v[122:123]
	v_fma_f64 v[110:111], v[8:9], v[98:99], -v[12:13]
	v_fma_f64 v[98:99], v[10:11], v[98:99], v[14:15]
	v_fma_f64 v[52:53], v[20:21], v[54:55], -v[30:31]
	v_fma_f64 v[56:57], v[22:23], v[54:55], v[32:33]
	v_fma_f64 v[50:51], v[2:3], v[120:121], v[6:7]
	global_load_b128 v[6:9], v[28:29], off offset:16
	v_fma_f64 v[48:49], v[0:1], v[120:121], -v[4:5]
	ds_load_b128 v[0:3], v160 offset:13440
	v_mul_f64 v[34:35], v[26:27], v[62:63]
	v_mul_f64 v[36:37], v[24:25], v[62:63]
	s_delay_alu instid0(VALU_DEP_2) | instskip(NEXT) | instid1(VALU_DEP_2)
	v_fma_f64 v[58:59], v[24:25], v[60:61], -v[34:35]
	v_fma_f64 v[62:63], v[26:27], v[60:61], v[36:37]
	s_waitcnt vmcnt(0) lgkmcnt(0)
	v_mul_f64 v[4:5], v[2:3], v[8:9]
	scratch_store_b128 off, v[6:9], off offset:832 ; 16-byte Folded Spill
	v_fma_f64 v[54:55], v[0:1], v[6:7], -v[4:5]
	v_mul_f64 v[0:1], v[0:1], v[8:9]
	s_delay_alu instid0(VALU_DEP_1)
	v_fma_f64 v[60:61], v[2:3], v[6:7], v[0:1]
	global_load_b128 v[6:9], v[28:29], off offset:32
	ds_load_b128 v[0:3], v160 offset:19200
	s_waitcnt vmcnt(0) lgkmcnt(0)
	v_mul_f64 v[4:5], v[2:3], v[8:9]
	scratch_store_b128 off, v[6:9], off offset:848 ; 16-byte Folded Spill
	v_fma_f64 v[76:77], v[0:1], v[6:7], -v[4:5]
	v_mul_f64 v[0:1], v[0:1], v[8:9]
	s_delay_alu instid0(VALU_DEP_1)
	v_fma_f64 v[70:71], v[2:3], v[6:7], v[0:1]
	global_load_b128 v[6:9], v[28:29], off offset:48
	ds_load_b128 v[0:3], v160 offset:24960
	;; [unrolled: 9-line block ×3, first 2 shown]
	s_waitcnt vmcnt(0) lgkmcnt(0)
	v_mul_f64 v[4:5], v[2:3], v[8:9]
	scratch_store_b128 off, v[6:9], off offset:880 ; 16-byte Folded Spill
	v_fma_f64 v[112:113], v[0:1], v[6:7], -v[4:5]
	v_mul_f64 v[0:1], v[0:1], v[8:9]
	s_delay_alu instid0(VALU_DEP_1) | instskip(SKIP_1) | instid1(VALU_DEP_1)
	v_fma_f64 v[102:103], v[2:3], v[6:7], v[0:1]
	v_mul_lo_u16 v0, 0xcd, v197
	v_lshrrev_b16 v200, 11, v0
	s_delay_alu instid0(VALU_DEP_1) | instskip(NEXT) | instid1(VALU_DEP_1)
	v_mul_lo_u16 v0, v200, 10
	v_sub_nc_u16 v0, v191, v0
	s_delay_alu instid0(VALU_DEP_1)
	v_and_b32_e32 v201, 0xff, v0
	ds_load_b128 v[0:3], v160 offset:8640
	v_mad_u64_u32 v[4:5], null, 0x50, v201, s[2:3]
	global_load_b128 v[8:11], v[4:5], off
	s_waitcnt vmcnt(0) lgkmcnt(0)
	v_mul_f64 v[6:7], v[2:3], v[10:11]
	scratch_store_b128 off, v[8:11], off offset:896 ; 16-byte Folded Spill
	v_fma_f64 v[64:65], v[0:1], v[8:9], -v[6:7]
	v_mul_f64 v[0:1], v[0:1], v[10:11]
	s_delay_alu instid0(VALU_DEP_1)
	v_fma_f64 v[68:69], v[2:3], v[8:9], v[0:1]
	global_load_b128 v[8:11], v[4:5], off offset:16
	ds_load_b128 v[0:3], v160 offset:14400
	s_waitcnt vmcnt(0) lgkmcnt(0)
	v_mul_f64 v[6:7], v[2:3], v[10:11]
	scratch_store_b128 off, v[8:11], off offset:912 ; 16-byte Folded Spill
	v_fma_f64 v[78:79], v[0:1], v[8:9], -v[6:7]
	v_mul_f64 v[0:1], v[0:1], v[10:11]
	s_delay_alu instid0(VALU_DEP_1)
	v_fma_f64 v[86:87], v[2:3], v[8:9], v[0:1]
	global_load_b128 v[8:11], v[4:5], off offset:32
	ds_load_b128 v[0:3], v160 offset:20160
	;; [unrolled: 9-line block ×3, first 2 shown]
	s_waitcnt vmcnt(0) lgkmcnt(0)
	v_mul_f64 v[6:7], v[2:3], v[10:11]
	scratch_store_b128 off, v[8:11], off offset:944 ; 16-byte Folded Spill
	v_fma_f64 v[120:121], v[0:1], v[8:9], -v[6:7]
	v_mul_f64 v[0:1], v[0:1], v[10:11]
	s_delay_alu instid0(VALU_DEP_2) | instskip(NEXT) | instid1(VALU_DEP_2)
	v_add_f64 v[16:17], v[78:79], v[120:121]
	v_fma_f64 v[122:123], v[2:3], v[8:9], v[0:1]
	global_load_b128 v[6:9], v[4:5], off offset:64
	ds_load_b128 v[0:3], v160 offset:31680
	s_waitcnt vmcnt(0) lgkmcnt(0)
	v_mul_f64 v[4:5], v[2:3], v[8:9]
	scratch_store_b128 off, v[6:9], off offset:960 ; 16-byte Folded Spill
	v_fma_f64 v[130:131], v[0:1], v[6:7], -v[4:5]
	v_mul_f64 v[0:1], v[0:1], v[8:9]
	s_delay_alu instid0(VALU_DEP_1) | instskip(SKIP_1) | instid1(VALU_DEP_1)
	v_fma_f64 v[128:129], v[2:3], v[6:7], v[0:1]
	v_mul_u32_u24_e32 v0, 0xcccd, v194
	v_lshrrev_b32_e32 v202, 19, v0
	s_delay_alu instid0(VALU_DEP_1) | instskip(NEXT) | instid1(VALU_DEP_1)
	v_mul_lo_u16 v0, v202, 10
	v_sub_nc_u16 v203, v193, v0
	s_delay_alu instid0(VALU_DEP_1) | instskip(NEXT) | instid1(VALU_DEP_1)
	v_mul_lo_u16 v0, 0x50, v203
	v_and_b32_e32 v0, 0xffff, v0
	s_delay_alu instid0(VALU_DEP_1) | instskip(NEXT) | instid1(VALU_DEP_1)
	v_add_co_u32 v4, s0, s2, v0
	v_add_co_ci_u32_e64 v5, null, s3, 0, s0
	ds_load_b128 v[0:3], v160 offset:9600
	global_load_b128 v[8:11], v[4:5], off
	s_waitcnt vmcnt(0) lgkmcnt(0)
	v_mul_f64 v[6:7], v[2:3], v[10:11]
	scratch_store_b128 off, v[8:11], off offset:976 ; 16-byte Folded Spill
	v_fma_f64 v[124:125], v[0:1], v[8:9], -v[6:7]
	v_mul_f64 v[0:1], v[0:1], v[10:11]
	s_delay_alu instid0(VALU_DEP_1)
	v_fma_f64 v[126:127], v[2:3], v[8:9], v[0:1]
	global_load_b128 v[8:11], v[4:5], off offset:16
	ds_load_b128 v[0:3], v160 offset:15360
	s_waitcnt vmcnt(0) lgkmcnt(0)
	v_mul_f64 v[6:7], v[2:3], v[10:11]
	scratch_store_b128 off, v[8:11], off offset:992 ; 16-byte Folded Spill
	v_fma_f64 v[132:133], v[0:1], v[8:9], -v[6:7]
	v_mul_f64 v[0:1], v[0:1], v[10:11]
	s_delay_alu instid0(VALU_DEP_1)
	v_fma_f64 v[134:135], v[2:3], v[8:9], v[0:1]
	global_load_b128 v[8:11], v[4:5], off offset:32
	ds_load_b128 v[0:3], v160 offset:21120
	s_waitcnt vmcnt(0) lgkmcnt(0)
	v_mul_f64 v[6:7], v[2:3], v[10:11]
	scratch_store_b128 off, v[8:11], off offset:1008 ; 16-byte Folded Spill
	v_fma_f64 v[138:139], v[0:1], v[8:9], -v[6:7]
	v_mul_f64 v[0:1], v[0:1], v[10:11]
	s_delay_alu instid0(VALU_DEP_1)
	v_fma_f64 v[136:137], v[2:3], v[8:9], v[0:1]
	global_load_b128 v[8:11], v[4:5], off offset:48
	ds_load_b128 v[0:3], v160 offset:26880
	s_waitcnt vmcnt(0) lgkmcnt(0)
	v_mul_f64 v[6:7], v[2:3], v[10:11]
	scratch_store_b128 off, v[8:11], off offset:1024 ; 16-byte Folded Spill
	v_fma_f64 v[140:141], v[0:1], v[8:9], -v[6:7]
	v_mul_f64 v[0:1], v[0:1], v[10:11]
	s_delay_alu instid0(VALU_DEP_2) | instskip(NEXT) | instid1(VALU_DEP_2)
	v_add_f64 v[24:25], v[132:133], v[140:141]
	v_fma_f64 v[142:143], v[2:3], v[8:9], v[0:1]
	global_load_b128 v[6:9], v[4:5], off offset:64
	ds_load_b128 v[0:3], v160 offset:32640
	s_waitcnt vmcnt(0) lgkmcnt(0)
	v_mul_f64 v[4:5], v[2:3], v[8:9]
	scratch_store_b128 off, v[6:9], off offset:1040 ; 16-byte Folded Spill
	v_fma_f64 v[148:149], v[0:1], v[6:7], -v[4:5]
	v_mul_f64 v[0:1], v[0:1], v[8:9]
	s_delay_alu instid0(VALU_DEP_1) | instskip(SKIP_1) | instid1(VALU_DEP_1)
	v_fma_f64 v[144:145], v[2:3], v[6:7], v[0:1]
	v_mul_u32_u24_e32 v0, 0xcccd, v196
	v_lshrrev_b32_e32 v204, 19, v0
	s_delay_alu instid0(VALU_DEP_1) | instskip(NEXT) | instid1(VALU_DEP_1)
	v_mul_lo_u16 v0, v204, 10
	v_sub_nc_u16 v205, v195, v0
	s_delay_alu instid0(VALU_DEP_1) | instskip(NEXT) | instid1(VALU_DEP_1)
	v_mul_lo_u16 v0, 0x50, v205
	v_and_b32_e32 v0, 0xffff, v0
	s_delay_alu instid0(VALU_DEP_1) | instskip(NEXT) | instid1(VALU_DEP_1)
	v_add_co_u32 v4, s0, s2, v0
	v_add_co_ci_u32_e64 v5, null, s3, 0, s0
	ds_load_b128 v[0:3], v160 offset:10560
	global_load_b128 v[8:11], v[4:5], off
	s_waitcnt vmcnt(0) lgkmcnt(0)
	v_mul_f64 v[6:7], v[2:3], v[10:11]
	scratch_store_b128 off, v[8:11], off offset:1056 ; 16-byte Folded Spill
	v_fma_f64 v[146:147], v[0:1], v[8:9], -v[6:7]
	v_mul_f64 v[0:1], v[0:1], v[10:11]
	s_delay_alu instid0(VALU_DEP_1)
	v_fma_f64 v[150:151], v[2:3], v[8:9], v[0:1]
	global_load_b128 v[8:11], v[4:5], off offset:16
	ds_load_b128 v[0:3], v160 offset:16320
	s_waitcnt vmcnt(0) lgkmcnt(0)
	v_mul_f64 v[6:7], v[2:3], v[10:11]
	scratch_store_b128 off, v[8:11], off offset:1072 ; 16-byte Folded Spill
	v_fma_f64 v[152:153], v[0:1], v[8:9], -v[6:7]
	v_mul_f64 v[0:1], v[0:1], v[10:11]
	s_delay_alu instid0(VALU_DEP_1)
	v_fma_f64 v[154:155], v[2:3], v[8:9], v[0:1]
	global_load_b128 v[8:11], v[4:5], off offset:32
	ds_load_b128 v[0:3], v160 offset:22080
	;; [unrolled: 9-line block ×3, first 2 shown]
	s_waitcnt vmcnt(0) lgkmcnt(0)
	v_mul_f64 v[6:7], v[2:3], v[10:11]
	scratch_store_b128 off, v[8:11], off offset:1104 ; 16-byte Folded Spill
	v_fma_f64 v[162:163], v[0:1], v[8:9], -v[6:7]
	v_mul_f64 v[0:1], v[0:1], v[10:11]
	s_delay_alu instid0(VALU_DEP_2) | instskip(NEXT) | instid1(VALU_DEP_2)
	v_add_f64 v[32:33], v[152:153], v[162:163]
	v_fma_f64 v[164:165], v[2:3], v[8:9], v[0:1]
	global_load_b128 v[6:9], v[4:5], off offset:64
	ds_load_b128 v[0:3], v160 offset:33600
	s_waitcnt vmcnt(0) lgkmcnt(0)
	v_mul_f64 v[4:5], v[2:3], v[8:9]
	scratch_store_b128 off, v[6:9], off offset:1120 ; 16-byte Folded Spill
	v_fma_f64 v[168:169], v[0:1], v[6:7], -v[4:5]
	v_mul_f64 v[0:1], v[0:1], v[8:9]
	v_add_f64 v[4:5], v[80:81], v[106:107]
	v_add_f64 v[8:9], v[54:55], v[84:85]
	s_delay_alu instid0(VALU_DEP_3)
	v_fma_f64 v[166:167], v[2:3], v[6:7], v[0:1]
	ds_load_b128 v[0:3], v160
	v_add_f64 v[6:7], v[74:75], v[96:97]
	s_waitcnt lgkmcnt(0)
	v_fma_f64 v[170:171], v[4:5], -0.5, v[0:1]
	v_add_f64 v[4:5], v[88:89], v[114:115]
	v_add_f64 v[0:1], v[0:1], v[80:81]
	s_delay_alu instid0(VALU_DEP_4) | instskip(NEXT) | instid1(VALU_DEP_3)
	v_add_f64 v[6:7], v[6:7], v[116:117]
	v_fma_f64 v[172:173], v[4:5], -0.5, v[2:3]
	v_add_f64 v[4:5], v[66:67], v[104:105]
	v_add_f64 v[2:3], v[2:3], v[88:89]
	;; [unrolled: 1-line block ×3, first 2 shown]
	s_delay_alu instid0(VALU_DEP_3) | instskip(NEXT) | instid1(VALU_DEP_3)
	v_add_f64 v[4:5], v[4:5], v[118:119]
	v_add_f64 v[2:3], v[2:3], v[114:115]
	s_delay_alu instid0(VALU_DEP_2) | instskip(SKIP_2) | instid1(VALU_DEP_4)
	v_add_f64 v[40:41], v[0:1], v[4:5]
	v_add_f64 v[44:45], v[0:1], -v[4:5]
	v_add_f64 v[4:5], v[58:59], v[90:91]
	v_add_f64 v[42:43], v[2:3], v[6:7]
	v_add_f64 v[46:47], v[2:3], -v[6:7]
	ds_load_b128 v[0:3], v160 offset:960
	v_add_f64 v[6:7], v[56:57], v[72:73]
	s_waitcnt lgkmcnt(0)
	v_fma_f64 v[174:175], v[4:5], -0.5, v[0:1]
	v_add_f64 v[4:5], v[62:63], v[92:93]
	v_add_f64 v[0:1], v[0:1], v[58:59]
	v_add_f64 v[58:59], v[58:59], -v[90:91]
	v_add_f64 v[6:7], v[6:7], v[98:99]
	s_delay_alu instid0(VALU_DEP_4) | instskip(SKIP_3) | instid1(VALU_DEP_3)
	v_fma_f64 v[176:177], v[4:5], -0.5, v[2:3]
	v_add_f64 v[2:3], v[2:3], v[62:63]
	v_add_f64 v[4:5], v[52:53], v[82:83]
	;; [unrolled: 1-line block ×4, first 2 shown]
	s_delay_alu instid0(VALU_DEP_3) | instskip(NEXT) | instid1(VALU_DEP_2)
	v_add_f64 v[4:5], v[4:5], v[110:111]
	v_add_f64 v[38:39], v[2:3], v[6:7]
	s_delay_alu instid0(VALU_DEP_2)
	v_add_f64 v[36:37], v[0:1], v[4:5]
	v_add_f64 v[0:1], v[0:1], -v[4:5]
	v_add_f64 v[2:3], v[2:3], -v[6:7]
	ds_load_b128 v[4:7], v160 offset:1920
	s_waitcnt lgkmcnt(0)
	v_fma_f64 v[178:179], v[8:9], -0.5, v[4:5]
	v_add_f64 v[8:9], v[60:61], v[94:95]
	v_add_f64 v[4:5], v[4:5], v[54:55]
	s_delay_alu instid0(VALU_DEP_2) | instskip(NEXT) | instid1(VALU_DEP_2)
	v_fma_f64 v[180:181], v[8:9], -0.5, v[6:7]
	v_add_f64 v[8:9], v[4:5], v[84:85]
	v_add_f64 v[4:5], v[48:49], v[76:77]
	;; [unrolled: 1-line block ×3, first 2 shown]
	v_add_f64 v[60:61], v[60:61], -v[94:95]
	s_delay_alu instid0(VALU_DEP_3) | instskip(SKIP_1) | instid1(VALU_DEP_4)
	v_add_f64 v[12:13], v[4:5], v[112:113]
	v_add_f64 v[4:5], v[50:51], v[70:71]
	;; [unrolled: 1-line block ×3, first 2 shown]
	v_add_f64 v[94:95], v[132:133], -v[140:141]
	s_delay_alu instid0(VALU_DEP_3) | instskip(SKIP_2) | instid1(VALU_DEP_3)
	v_add_f64 v[14:15], v[4:5], v[102:103]
	v_add_f64 v[4:5], v[8:9], v[12:13]
	v_add_f64 v[8:9], v[8:9], -v[12:13]
	v_add_f64 v[6:7], v[10:11], v[14:15]
	v_add_f64 v[10:11], v[10:11], -v[14:15]
	ds_load_b128 v[12:15], v160 offset:2880
	s_waitcnt lgkmcnt(0)
	v_fma_f64 v[182:183], v[16:17], -0.5, v[12:13]
	v_add_f64 v[16:17], v[86:87], v[122:123]
	v_add_f64 v[12:13], v[12:13], v[78:79]
	v_add_f64 v[78:79], v[78:79], -v[120:121]
	s_delay_alu instid0(VALU_DEP_3) | instskip(NEXT) | instid1(VALU_DEP_3)
	v_fma_f64 v[184:185], v[16:17], -0.5, v[14:15]
	v_add_f64 v[16:17], v[12:13], v[120:121]
	v_add_f64 v[12:13], v[64:65], v[108:109]
	;; [unrolled: 1-line block ×3, first 2 shown]
	s_delay_alu instid0(VALU_DEP_2) | instskip(SKIP_1) | instid1(VALU_DEP_3)
	v_add_f64 v[20:21], v[12:13], v[130:131]
	v_add_f64 v[12:13], v[68:69], v[100:101]
	;; [unrolled: 1-line block ×3, first 2 shown]
	s_delay_alu instid0(VALU_DEP_2) | instskip(NEXT) | instid1(VALU_DEP_4)
	v_add_f64 v[22:23], v[12:13], v[128:129]
	v_add_f64 v[12:13], v[16:17], v[20:21]
	v_add_f64 v[16:17], v[16:17], -v[20:21]
	s_delay_alu instid0(VALU_DEP_3)
	v_add_f64 v[14:15], v[18:19], v[22:23]
	v_add_f64 v[18:19], v[18:19], -v[22:23]
	ds_load_b128 v[20:23], v160 offset:3840
	s_waitcnt lgkmcnt(0)
	v_fma_f64 v[186:187], v[24:25], -0.5, v[20:21]
	v_add_f64 v[24:25], v[134:135], v[142:143]
	v_add_f64 v[20:21], v[20:21], v[132:133]
	s_delay_alu instid0(VALU_DEP_2) | instskip(NEXT) | instid1(VALU_DEP_2)
	v_fma_f64 v[188:189], v[24:25], -0.5, v[22:23]
	v_add_f64 v[24:25], v[20:21], v[140:141]
	v_add_f64 v[20:21], v[124:125], v[138:139]
	;; [unrolled: 1-line block ×3, first 2 shown]
	s_delay_alu instid0(VALU_DEP_2) | instskip(SKIP_1) | instid1(VALU_DEP_3)
	v_add_f64 v[28:29], v[20:21], v[148:149]
	v_add_f64 v[20:21], v[126:127], v[136:137]
	;; [unrolled: 1-line block ×3, first 2 shown]
	s_delay_alu instid0(VALU_DEP_2) | instskip(NEXT) | instid1(VALU_DEP_4)
	v_add_f64 v[30:31], v[20:21], v[144:145]
	v_add_f64 v[20:21], v[24:25], v[28:29]
	v_add_f64 v[24:25], v[24:25], -v[28:29]
	s_delay_alu instid0(VALU_DEP_3)
	v_add_f64 v[22:23], v[26:27], v[30:31]
	v_add_f64 v[26:27], v[26:27], -v[30:31]
	ds_load_b128 v[28:31], v160 offset:4800
	s_waitcnt lgkmcnt(0)
	s_waitcnt_vscnt null, 0x0
	s_barrier
	buffer_gl0_inv
	ds_store_b128 v225, v[40:43]
	ds_store_b128 v225, v[44:47] offset:480
	v_add_f64 v[44:45], v[96:97], v[116:117]
	v_add_f64 v[40:41], v[104:105], v[118:119]
	v_add_f64 v[42:43], v[104:105], -v[118:119]
	v_add_f64 v[46:47], v[88:89], -v[114:115]
	v_fma_f64 v[221:222], v[32:33], -0.5, v[28:29]
	v_add_f64 v[32:33], v[154:155], v[164:165]
	v_add_f64 v[28:29], v[28:29], v[152:153]
	v_fma_f64 v[44:45], v[44:45], -0.5, v[74:75]
	v_add_f64 v[74:75], v[80:81], -v[106:107]
	v_add_f64 v[80:81], v[96:97], -v[116:117]
	v_fma_f64 v[40:41], v[40:41], -0.5, v[66:67]
	v_fma_f64 v[223:224], v[32:33], -0.5, v[30:31]
	v_add_f64 v[32:33], v[28:29], v[162:163]
	v_add_f64 v[28:29], v[146:147], v[158:159]
	;; [unrolled: 1-line block ×3, first 2 shown]
	v_fma_f64 v[66:67], v[42:43], s[12:13], v[44:45]
	v_fma_f64 v[42:43], v[42:43], s[14:15], v[44:45]
	;; [unrolled: 1-line block ×5, first 2 shown]
	v_add_f64 v[80:81], v[100:101], -v[128:129]
	v_add_f64 v[210:211], v[28:29], v[168:169]
	v_add_f64 v[28:29], v[150:151], v[156:157]
	;; [unrolled: 1-line block ×3, first 2 shown]
	v_mul_f64 v[96:97], v[66:67], s[14:15]
	v_mul_f64 v[44:45], v[40:41], -0.5
	s_delay_alu instid0(VALU_DEP_4)
	v_add_f64 v[213:214], v[28:29], v[166:167]
	v_add_f64 v[28:29], v[32:33], v[210:211]
	v_add_f64 v[32:33], v[32:33], -v[210:211]
	v_fma_f64 v[96:97], v[88:89], 0.5, v[96:97]
	v_mul_f64 v[88:89], v[88:89], s[12:13]
	v_fma_f64 v[44:45], v[42:43], s[14:15], v[44:45]
	v_mul_f64 v[42:43], v[42:43], -0.5
	v_add_f64 v[30:31], v[34:35], v[213:214]
	v_add_f64 v[34:35], v[34:35], -v[213:214]
	v_fma_f64 v[66:67], v[66:67], 0.5, v[88:89]
	v_fma_f64 v[88:89], v[46:47], s[14:15], v[170:171]
	v_fma_f64 v[46:47], v[46:47], s[12:13], v[170:171]
	;; [unrolled: 1-line block ×3, first 2 shown]
	v_add_f64 v[42:43], v[72:73], v[98:99]
	v_add_f64 v[116:117], v[104:105], v[66:67]
	v_add_f64 v[210:211], v[104:105], -v[66:67]
	v_fma_f64 v[66:67], v[74:75], s[14:15], v[172:173]
	v_add_f64 v[170:171], v[46:47], v[44:45]
	v_add_f64 v[213:214], v[46:47], -v[44:45]
	v_add_f64 v[44:45], v[82:83], -v[110:111]
	v_fma_f64 v[46:47], v[42:43], -0.5, v[56:57]
	v_add_f64 v[56:57], v[62:63], -v[92:93]
	v_add_f64 v[62:63], v[72:73], -v[98:99]
	v_fma_f64 v[72:73], v[58:59], s[12:13], v[176:177]
	v_fma_f64 v[58:59], v[58:59], s[14:15], v[176:177]
	v_add_f64 v[114:115], v[88:89], v[96:97]
	v_add_f64 v[208:209], v[88:89], -v[96:97]
	v_add_f64 v[88:89], v[138:139], -v[148:149]
	;; [unrolled: 1-line block ×5, first 2 shown]
	v_add_f64 v[172:173], v[66:67], v[40:41]
	v_add_f64 v[215:216], v[66:67], -v[40:41]
	v_add_f64 v[40:41], v[82:83], v[110:111]
	v_add_f64 v[110:111], v[152:153], -v[162:163]
	ds_store_b128 v225, v[114:117] offset:160
	ds_store_b128 v225, v[170:173] offset:320
	;; [unrolled: 1-line block ×3, first 2 shown]
	scratch_store_b32 off, v225, off offset:1136 ; 4-byte Folded Spill
	ds_store_b128 v225, v[213:216] offset:800
	v_fma_f64 v[52:53], v[40:41], -0.5, v[52:53]
	v_fma_f64 v[40:41], v[44:45], s[12:13], v[46:47]
	v_fma_f64 v[44:45], v[44:45], s[14:15], v[46:47]
	s_delay_alu instid0(VALU_DEP_3) | instskip(SKIP_1) | instid1(VALU_DEP_4)
	v_fma_f64 v[42:43], v[62:63], s[14:15], v[52:53]
	v_fma_f64 v[52:53], v[62:63], s[12:13], v[52:53]
	v_mul_f64 v[66:67], v[40:41], s[14:15]
	v_add_f64 v[62:63], v[54:55], -v[84:85]
	s_delay_alu instid0(VALU_DEP_3) | instskip(NEXT) | instid1(VALU_DEP_3)
	v_mul_f64 v[46:47], v[52:53], -0.5
	v_fma_f64 v[66:67], v[42:43], 0.5, v[66:67]
	v_mul_f64 v[42:43], v[42:43], s[12:13]
	s_delay_alu instid0(VALU_DEP_4) | instskip(NEXT) | instid1(VALU_DEP_4)
	v_fma_f64 v[74:75], v[62:63], s[12:13], v[180:181]
	v_fma_f64 v[46:47], v[44:45], s[14:15], v[46:47]
	v_mul_f64 v[44:45], v[44:45], -0.5
	s_delay_alu instid0(VALU_DEP_4) | instskip(SKIP_2) | instid1(VALU_DEP_4)
	v_fma_f64 v[42:43], v[40:41], 0.5, v[42:43]
	v_fma_f64 v[40:41], v[56:57], s[14:15], v[174:175]
	v_fma_f64 v[56:57], v[56:57], s[12:13], v[174:175]
	;; [unrolled: 1-line block ×3, first 2 shown]
	s_delay_alu instid0(VALU_DEP_4) | instskip(NEXT) | instid1(VALU_DEP_4)
	v_add_f64 v[219:220], v[72:73], v[42:43]
	v_add_f64 v[217:218], v[40:41], v[66:67]
	s_delay_alu instid0(VALU_DEP_4)
	v_add_f64 v[174:175], v[56:57], v[46:47]
	v_add_f64 v[44:45], v[56:57], -v[46:47]
	v_add_f64 v[56:57], v[76:77], -v[112:113]
	v_add_f64 v[40:41], v[40:41], -v[66:67]
	v_add_f64 v[66:67], v[70:71], -v[102:103]
	v_add_f64 v[42:43], v[72:73], -v[42:43]
	v_add_f64 v[176:177], v[58:59], v[52:53]
	v_add_f64 v[46:47], v[58:59], -v[52:53]
	v_add_f64 v[58:59], v[70:71], v[102:103]
	v_add_f64 v[52:53], v[76:77], v[112:113]
	v_add_f64 v[76:77], v[86:87], -v[122:123]
	v_fma_f64 v[86:87], v[78:79], s[12:13], v[184:185]
	v_fma_f64 v[102:103], v[94:95], s[12:13], v[188:189]
	v_add_f64 v[112:113], v[156:157], -v[166:167]
	v_fma_f64 v[122:123], v[110:111], s[12:13], v[223:224]
	v_fma_f64 v[58:59], v[58:59], -0.5, v[50:51]
	v_fma_f64 v[70:71], v[52:53], -0.5, v[48:49]
	s_delay_alu instid0(VALU_DEP_2) | instskip(NEXT) | instid1(VALU_DEP_2)
	v_fma_f64 v[48:49], v[56:57], s[12:13], v[58:59]
	v_fma_f64 v[50:51], v[66:67], s[14:15], v[70:71]
	;; [unrolled: 1-line block ×5, first 2 shown]
	v_mul_f64 v[52:53], v[48:49], s[14:15]
	s_delay_alu instid0(VALU_DEP_4) | instskip(NEXT) | instid1(VALU_DEP_2)
	v_mul_f64 v[58:59], v[66:67], -0.5
	v_fma_f64 v[72:73], v[50:51], 0.5, v[52:53]
	v_mul_f64 v[50:51], v[50:51], s[12:13]
	s_delay_alu instid0(VALU_DEP_3) | instskip(SKIP_1) | instid1(VALU_DEP_3)
	v_fma_f64 v[58:59], v[56:57], s[14:15], v[58:59]
	v_mul_f64 v[56:57], v[56:57], -0.5
	v_fma_f64 v[50:51], v[48:49], 0.5, v[50:51]
	v_fma_f64 v[48:49], v[60:61], s[14:15], v[178:179]
	s_delay_alu instid0(VALU_DEP_3)
	v_fma_f64 v[66:67], v[66:67], s[12:13], v[56:57]
	v_add_f64 v[60:61], v[70:71], v[58:59]
	v_add_f64 v[56:57], v[70:71], -v[58:59]
	v_add_f64 v[70:71], v[100:101], v[128:129]
	v_add_f64 v[54:55], v[74:75], v[50:51]
	;; [unrolled: 1-line block ×3, first 2 shown]
	v_add_f64 v[48:49], v[48:49], -v[72:73]
	v_fma_f64 v[72:73], v[62:63], s[14:15], v[180:181]
	v_add_f64 v[50:51], v[74:75], -v[50:51]
	v_fma_f64 v[74:75], v[70:71], -0.5, v[68:69]
	s_delay_alu instid0(VALU_DEP_3) | instskip(SKIP_4) | instid1(VALU_DEP_3)
	v_add_f64 v[62:63], v[72:73], v[66:67]
	v_add_f64 v[58:59], v[72:73], -v[66:67]
	v_add_f64 v[66:67], v[108:109], v[130:131]
	v_add_f64 v[72:73], v[108:109], -v[130:131]
	v_add_f64 v[108:109], v[154:155], -v[164:165]
	v_fma_f64 v[82:83], v[66:67], -0.5, v[64:65]
	s_delay_alu instid0(VALU_DEP_3) | instskip(SKIP_1) | instid1(VALU_DEP_3)
	v_fma_f64 v[64:65], v[72:73], s[12:13], v[74:75]
	v_fma_f64 v[72:73], v[72:73], s[14:15], v[74:75]
	;; [unrolled: 1-line block ×3, first 2 shown]
	s_delay_alu instid0(VALU_DEP_3) | instskip(SKIP_2) | instid1(VALU_DEP_3)
	v_mul_f64 v[68:69], v[64:65], s[14:15]
	v_fma_f64 v[80:81], v[80:81], s[12:13], v[82:83]
	v_fma_f64 v[82:83], v[76:77], s[12:13], v[182:183]
	v_fma_f64 v[84:85], v[66:67], 0.5, v[68:69]
	v_mul_f64 v[66:67], v[66:67], s[12:13]
	s_delay_alu instid0(VALU_DEP_4) | instskip(NEXT) | instid1(VALU_DEP_2)
	v_mul_f64 v[74:75], v[80:81], -0.5
	v_fma_f64 v[66:67], v[64:65], 0.5, v[66:67]
	v_fma_f64 v[64:65], v[76:77], s[14:15], v[182:183]
	s_delay_alu instid0(VALU_DEP_3) | instskip(SKIP_1) | instid1(VALU_DEP_4)
	v_fma_f64 v[74:75], v[72:73], s[14:15], v[74:75]
	v_mul_f64 v[72:73], v[72:73], -0.5
	v_add_f64 v[70:71], v[86:87], v[66:67]
	s_delay_alu instid0(VALU_DEP_4)
	v_add_f64 v[68:69], v[64:65], v[84:85]
	v_add_f64 v[64:65], v[64:65], -v[84:85]
	v_fma_f64 v[84:85], v[78:79], s[14:15], v[184:185]
	v_fma_f64 v[80:81], v[80:81], s[12:13], v[72:73]
	v_add_f64 v[76:77], v[82:83], v[74:75]
	v_add_f64 v[72:73], v[82:83], -v[74:75]
	v_add_f64 v[82:83], v[136:137], v[144:145]
	v_add_f64 v[66:67], v[86:87], -v[66:67]
	;; [unrolled: 2-line block ×3, first 2 shown]
	v_add_f64 v[80:81], v[138:139], v[148:149]
	v_fma_f64 v[90:91], v[82:83], -0.5, v[126:127]
	s_delay_alu instid0(VALU_DEP_2) | instskip(NEXT) | instid1(VALU_DEP_2)
	v_fma_f64 v[98:99], v[80:81], -0.5, v[124:125]
	v_fma_f64 v[80:81], v[88:89], s[12:13], v[90:91]
	v_fma_f64 v[88:89], v[88:89], s[14:15], v[90:91]
	s_delay_alu instid0(VALU_DEP_3) | instskip(NEXT) | instid1(VALU_DEP_3)
	v_fma_f64 v[82:83], v[96:97], s[14:15], v[98:99]
	v_mul_f64 v[84:85], v[80:81], s[14:15]
	v_fma_f64 v[96:97], v[96:97], s[12:13], v[98:99]
	v_fma_f64 v[98:99], v[92:93], s[12:13], v[186:187]
	s_delay_alu instid0(VALU_DEP_3) | instskip(SKIP_1) | instid1(VALU_DEP_4)
	v_fma_f64 v[100:101], v[82:83], 0.5, v[84:85]
	v_mul_f64 v[82:83], v[82:83], s[12:13]
	v_mul_f64 v[90:91], v[96:97], -0.5
	s_delay_alu instid0(VALU_DEP_2) | instskip(SKIP_1) | instid1(VALU_DEP_3)
	v_fma_f64 v[82:83], v[80:81], 0.5, v[82:83]
	v_fma_f64 v[80:81], v[92:93], s[14:15], v[186:187]
	v_fma_f64 v[90:91], v[88:89], s[14:15], v[90:91]
	v_mul_f64 v[88:89], v[88:89], -0.5
	s_delay_alu instid0(VALU_DEP_4) | instskip(NEXT) | instid1(VALU_DEP_4)
	v_add_f64 v[86:87], v[102:103], v[82:83]
	v_add_f64 v[84:85], v[80:81], v[100:101]
	v_add_f64 v[80:81], v[80:81], -v[100:101]
	v_fma_f64 v[100:101], v[94:95], s[14:15], v[188:189]
	v_fma_f64 v[96:97], v[96:97], s[12:13], v[88:89]
	v_add_f64 v[92:93], v[98:99], v[90:91]
	v_add_f64 v[88:89], v[98:99], -v[90:91]
	v_add_f64 v[98:99], v[156:157], v[166:167]
	v_add_f64 v[82:83], v[102:103], -v[82:83]
	;; [unrolled: 2-line block ×3, first 2 shown]
	v_add_f64 v[96:97], v[158:159], v[168:169]
	v_fma_f64 v[106:107], v[98:99], -0.5, v[150:151]
	s_delay_alu instid0(VALU_DEP_2) | instskip(NEXT) | instid1(VALU_DEP_2)
	v_fma_f64 v[118:119], v[96:97], -0.5, v[146:147]
	v_fma_f64 v[96:97], v[104:105], s[12:13], v[106:107]
	v_fma_f64 v[104:105], v[104:105], s[14:15], v[106:107]
	s_delay_alu instid0(VALU_DEP_3) | instskip(NEXT) | instid1(VALU_DEP_3)
	v_fma_f64 v[98:99], v[112:113], s[14:15], v[118:119]
	v_mul_f64 v[100:101], v[96:97], s[14:15]
	v_fma_f64 v[112:113], v[112:113], s[12:13], v[118:119]
	v_fma_f64 v[118:119], v[108:109], s[12:13], v[221:222]
	s_delay_alu instid0(VALU_DEP_3) | instskip(SKIP_1) | instid1(VALU_DEP_4)
	v_fma_f64 v[120:121], v[98:99], 0.5, v[100:101]
	v_mul_f64 v[98:99], v[98:99], s[12:13]
	v_mul_f64 v[106:107], v[112:113], -0.5
	s_delay_alu instid0(VALU_DEP_2) | instskip(SKIP_1) | instid1(VALU_DEP_3)
	v_fma_f64 v[98:99], v[96:97], 0.5, v[98:99]
	v_fma_f64 v[96:97], v[108:109], s[14:15], v[221:222]
	v_fma_f64 v[106:107], v[104:105], s[14:15], v[106:107]
	v_mul_f64 v[104:105], v[104:105], -0.5
	s_delay_alu instid0(VALU_DEP_4) | instskip(NEXT) | instid1(VALU_DEP_4)
	v_add_f64 v[102:103], v[122:123], v[98:99]
	v_add_f64 v[100:101], v[96:97], v[120:121]
	v_add_f64 v[96:97], v[96:97], -v[120:121]
	v_fma_f64 v[120:121], v[110:111], s[14:15], v[223:224]
	v_fma_f64 v[112:113], v[112:113], s[12:13], v[104:105]
	v_add_f64 v[108:109], v[118:119], v[106:107]
	v_add_f64 v[104:105], v[118:119], -v[106:107]
	v_add_f64 v[98:99], v[122:123], -v[98:99]
	s_delay_alu instid0(VALU_DEP_4) | instskip(SKIP_2) | instid1(VALU_DEP_1)
	v_add_f64 v[110:111], v[120:121], v[112:113]
	v_add_f64 v[106:107], v[120:121], -v[112:113]
	v_and_b32_e32 v112, 0xffff, v206
	v_mul_u32_u24_e32 v112, 60, v112
	s_delay_alu instid0(VALU_DEP_1)
	v_add_lshl_u32 v112, v112, v207, 4
	ds_store_b128 v112, v[36:39]
	ds_store_b128 v112, v[217:220] offset:160
	ds_store_b128 v112, v[174:177] offset:320
	;; [unrolled: 1-line block ×4, first 2 shown]
	v_and_b32_e32 v0, 0xffff, v198
	scratch_store_b32 off, v112, off offset:1140 ; 4-byte Folded Spill
	ds_store_b128 v112, v[44:47] offset:800
	v_mul_u32_u24_e32 v0, 60, v0
	s_delay_alu instid0(VALU_DEP_1)
	v_add_lshl_u32 v0, v0, v199, 4
	ds_store_b128 v0, v[4:7]
	ds_store_b128 v0, v[52:55] offset:160
	ds_store_b128 v0, v[60:63] offset:320
	;; [unrolled: 1-line block ×4, first 2 shown]
	scratch_store_b32 off, v0, off offset:1480 ; 4-byte Folded Spill
	ds_store_b128 v0, v[56:59] offset:800
	v_and_b32_e32 v0, 0xffff, v200
	s_delay_alu instid0(VALU_DEP_1) | instskip(NEXT) | instid1(VALU_DEP_1)
	v_mul_u32_u24_e32 v0, 60, v0
	v_add_lshl_u32 v0, v0, v201, 4
	ds_store_b128 v0, v[12:15]
	ds_store_b128 v0, v[68:71] offset:160
	ds_store_b128 v0, v[76:79] offset:320
	;; [unrolled: 1-line block ×4, first 2 shown]
	scratch_store_b32 off, v0, off offset:1472 ; 4-byte Folded Spill
	ds_store_b128 v0, v[72:75] offset:800
	v_mad_u16 v0, v202, 60, v203
	v_mad_u64_u32 v[68:69], null, 0x50, v226, s[2:3]
	s_delay_alu instid0(VALU_DEP_2) | instskip(NEXT) | instid1(VALU_DEP_1)
	v_and_b32_e32 v0, 0xffff, v0
	v_lshlrev_b32_e32 v0, 4, v0
	ds_store_b128 v0, v[20:23]
	ds_store_b128 v0, v[24:27] offset:480
	ds_store_b128 v0, v[84:87] offset:160
	;; [unrolled: 1-line block ×4, first 2 shown]
	scratch_store_b32 off, v0, off offset:1468 ; 4-byte Folded Spill
	ds_store_b128 v0, v[88:91] offset:800
	v_mad_u16 v0, v204, 60, v205
	s_delay_alu instid0(VALU_DEP_1) | instskip(NEXT) | instid1(VALU_DEP_1)
	v_and_b32_e32 v0, 0xffff, v0
	v_lshlrev_b32_e32 v0, 4, v0
	ds_store_b128 v0, v[28:31]
	ds_store_b128 v0, v[100:103] offset:160
	ds_store_b128 v0, v[108:111] offset:320
	;; [unrolled: 1-line block ×4, first 2 shown]
	scratch_store_b32 off, v0, off offset:1384 ; 4-byte Folded Spill
	ds_store_b128 v0, v[104:107] offset:800
	s_waitcnt lgkmcnt(0)
	s_waitcnt_vscnt null, 0x0
	s_barrier
	buffer_gl0_inv
	s_clause 0x2
	global_load_b128 v[0:3], v[68:69], off offset:800
	global_load_b128 v[16:19], v[68:69], off offset:816
	;; [unrolled: 1-line block ×3, first 2 shown]
	ds_load_b128 v[4:7], v160 offset:5760
	s_waitcnt vmcnt(2) lgkmcnt(0)
	v_mul_f64 v[8:9], v[6:7], v[2:3]
	s_delay_alu instid0(VALU_DEP_1) | instskip(SKIP_1) | instid1(VALU_DEP_1)
	v_fma_f64 v[70:71], v[4:5], v[0:1], -v[8:9]
	v_mul_f64 v[4:5], v[4:5], v[2:3]
	v_fma_f64 v[74:75], v[6:7], v[0:1], v[4:5]
	ds_load_b128 v[4:7], v160 offset:11520
	s_waitcnt vmcnt(1) lgkmcnt(0)
	v_mul_f64 v[8:9], v[6:7], v[18:19]
	s_delay_alu instid0(VALU_DEP_1) | instskip(SKIP_1) | instid1(VALU_DEP_1)
	v_fma_f64 v[76:77], v[4:5], v[16:17], -v[8:9]
	v_mul_f64 v[4:5], v[4:5], v[18:19]
	v_fma_f64 v[80:81], v[6:7], v[16:17], v[4:5]
	ds_load_b128 v[4:7], v160 offset:17280
	s_waitcnt vmcnt(0) lgkmcnt(0)
	v_mul_f64 v[8:9], v[6:7], v[14:15]
	s_delay_alu instid0(VALU_DEP_1) | instskip(SKIP_2) | instid1(VALU_DEP_1)
	v_fma_f64 v[90:91], v[4:5], v[12:13], -v[8:9]
	global_load_b128 v[8:11], v[68:69], off offset:848
	v_mul_f64 v[4:5], v[4:5], v[14:15]
	v_fma_f64 v[86:87], v[6:7], v[12:13], v[4:5]
	ds_load_b128 v[4:7], v160 offset:23040
	s_waitcnt vmcnt(0) lgkmcnt(0)
	v_mul_f64 v[20:21], v[6:7], v[10:11]
	s_delay_alu instid0(VALU_DEP_1)
	v_fma_f64 v[94:95], v[4:5], v[8:9], -v[20:21]
	v_mul_f64 v[4:5], v[4:5], v[10:11]
	ds_load_b128 v[20:23], v160 offset:28800
	v_fma_f64 v[98:99], v[6:7], v[8:9], v[4:5]
	global_load_b128 v[4:7], v[68:69], off offset:864
	s_waitcnt vmcnt(0) lgkmcnt(0)
	v_mul_f64 v[24:25], v[22:23], v[6:7]
	s_delay_alu instid0(VALU_DEP_1) | instskip(SKIP_1) | instid1(VALU_DEP_1)
	v_fma_f64 v[106:107], v[20:21], v[4:5], -v[24:25]
	v_mul_f64 v[20:21], v[20:21], v[6:7]
	v_fma_f64 v[102:103], v[22:23], v[4:5], v[20:21]
	ds_load_b128 v[20:23], v160 offset:6720
	s_waitcnt lgkmcnt(0)
	v_mul_f64 v[24:25], v[22:23], v[2:3]
	s_delay_alu instid0(VALU_DEP_1) | instskip(SKIP_1) | instid1(VALU_DEP_1)
	v_fma_f64 v[72:73], v[20:21], v[0:1], -v[24:25]
	v_mul_f64 v[20:21], v[20:21], v[2:3]
	v_fma_f64 v[78:79], v[22:23], v[0:1], v[20:21]
	ds_load_b128 v[20:23], v160 offset:12480
	s_waitcnt lgkmcnt(0)
	;; [unrolled: 7-line block ×5, first 2 shown]
	v_mul_f64 v[24:25], v[22:23], v[6:7]
	s_delay_alu instid0(VALU_DEP_1) | instskip(SKIP_1) | instid1(VALU_DEP_1)
	v_fma_f64 v[120:121], v[20:21], v[4:5], -v[24:25]
	v_mul_f64 v[20:21], v[20:21], v[6:7]
	v_fma_f64 v[118:119], v[22:23], v[4:5], v[20:21]
	v_mul_lo_u16 v20, 0x89, v192
	s_delay_alu instid0(VALU_DEP_1) | instskip(NEXT) | instid1(VALU_DEP_1)
	v_lshrrev_b16 v20, 13, v20
	v_mul_lo_u16 v20, v20, 60
	s_delay_alu instid0(VALU_DEP_1) | instskip(NEXT) | instid1(VALU_DEP_1)
	v_sub_nc_u16 v20, v190, v20
	v_and_b32_e32 v213, 0xff, v20
	ds_load_b128 v[20:23], v160 offset:7680
	v_mad_u64_u32 v[24:25], null, 0x50, v213, s[2:3]
	global_load_b128 v[28:31], v[24:25], off offset:800
	s_waitcnt vmcnt(0) lgkmcnt(0)
	v_mul_f64 v[26:27], v[22:23], v[30:31]
	scratch_store_b128 off, v[28:31], off offset:1144 ; 16-byte Folded Spill
	v_fma_f64 v[104:105], v[20:21], v[28:29], -v[26:27]
	v_mul_f64 v[20:21], v[20:21], v[30:31]
	s_delay_alu instid0(VALU_DEP_1)
	v_fma_f64 v[108:109], v[22:23], v[28:29], v[20:21]
	global_load_b128 v[28:31], v[24:25], off offset:816
	ds_load_b128 v[20:23], v160 offset:13440
	s_waitcnt vmcnt(0) lgkmcnt(0)
	v_mul_f64 v[26:27], v[22:23], v[30:31]
	scratch_store_b128 off, v[28:31], off offset:1160 ; 16-byte Folded Spill
	v_fma_f64 v[110:111], v[20:21], v[28:29], -v[26:27]
	v_mul_f64 v[20:21], v[20:21], v[30:31]
	s_delay_alu instid0(VALU_DEP_1)
	v_fma_f64 v[112:113], v[22:23], v[28:29], v[20:21]
	global_load_b128 v[28:31], v[24:25], off offset:832
	ds_load_b128 v[20:23], v160 offset:19200
	;; [unrolled: 9-line block ×4, first 2 shown]
	s_waitcnt vmcnt(0) lgkmcnt(0)
	v_mul_f64 v[24:25], v[22:23], v[28:29]
	scratch_store_b128 off, v[26:29], off offset:1208 ; 16-byte Folded Spill
	v_fma_f64 v[128:129], v[20:21], v[26:27], -v[24:25]
	v_mul_f64 v[20:21], v[20:21], v[28:29]
	s_delay_alu instid0(VALU_DEP_1) | instskip(SKIP_1) | instid1(VALU_DEP_1)
	v_fma_f64 v[126:127], v[22:23], v[26:27], v[20:21]
	v_mul_lo_u16 v20, 0x89, v197
	v_lshrrev_b16 v20, 13, v20
	s_delay_alu instid0(VALU_DEP_1) | instskip(NEXT) | instid1(VALU_DEP_1)
	v_mul_lo_u16 v20, v20, 60
	v_sub_nc_u16 v20, v191, v20
	s_delay_alu instid0(VALU_DEP_1)
	v_and_b32_e32 v214, 0xff, v20
	ds_load_b128 v[20:23], v160 offset:8640
	v_mad_u64_u32 v[24:25], null, 0x50, v214, s[2:3]
	global_load_b128 v[28:31], v[24:25], off offset:800
	s_waitcnt vmcnt(0) lgkmcnt(0)
	v_mul_f64 v[26:27], v[22:23], v[30:31]
	scratch_store_b128 off, v[28:31], off offset:1224 ; 16-byte Folded Spill
	v_fma_f64 v[130:131], v[20:21], v[28:29], -v[26:27]
	v_mul_f64 v[20:21], v[20:21], v[30:31]
	s_delay_alu instid0(VALU_DEP_1)
	v_fma_f64 v[132:133], v[22:23], v[28:29], v[20:21]
	global_load_b128 v[28:31], v[24:25], off offset:816
	ds_load_b128 v[20:23], v160 offset:14400
	s_waitcnt vmcnt(0) lgkmcnt(0)
	v_mul_f64 v[26:27], v[22:23], v[30:31]
	scratch_store_b128 off, v[28:31], off offset:1240 ; 16-byte Folded Spill
	v_fma_f64 v[134:135], v[20:21], v[28:29], -v[26:27]
	v_mul_f64 v[20:21], v[20:21], v[30:31]
	s_delay_alu instid0(VALU_DEP_1)
	v_fma_f64 v[136:137], v[22:23], v[28:29], v[20:21]
	global_load_b128 v[28:31], v[24:25], off offset:832
	ds_load_b128 v[20:23], v160 offset:20160
	;; [unrolled: 9-line block ×3, first 2 shown]
	s_waitcnt vmcnt(0) lgkmcnt(0)
	v_mul_f64 v[26:27], v[22:23], v[30:31]
	scratch_store_b128 off, v[28:31], off offset:1272 ; 16-byte Folded Spill
	v_fma_f64 v[142:143], v[20:21], v[28:29], -v[26:27]
	v_mul_f64 v[20:21], v[20:21], v[30:31]
	s_delay_alu instid0(VALU_DEP_2) | instskip(NEXT) | instid1(VALU_DEP_2)
	v_add_f64 v[32:33], v[134:135], v[142:143]
	v_fma_f64 v[144:145], v[22:23], v[28:29], v[20:21]
	global_load_b128 v[26:29], v[24:25], off offset:864
	ds_load_b128 v[20:23], v160 offset:31680
	s_waitcnt vmcnt(0) lgkmcnt(0)
	v_mul_f64 v[24:25], v[22:23], v[28:29]
	scratch_store_b128 off, v[26:29], off offset:1288 ; 16-byte Folded Spill
	v_fma_f64 v[150:151], v[20:21], v[26:27], -v[24:25]
	v_mul_f64 v[20:21], v[20:21], v[28:29]
	s_delay_alu instid0(VALU_DEP_1) | instskip(SKIP_1) | instid1(VALU_DEP_1)
	v_fma_f64 v[148:149], v[22:23], v[26:27], v[20:21]
	v_mul_u32_u24_e32 v20, 0x8889, v194
	v_lshrrev_b32_e32 v20, 21, v20
	s_delay_alu instid0(VALU_DEP_1) | instskip(NEXT) | instid1(VALU_DEP_1)
	v_mul_lo_u16 v20, v20, 60
	v_sub_nc_u16 v215, v193, v20
	s_delay_alu instid0(VALU_DEP_1) | instskip(NEXT) | instid1(VALU_DEP_1)
	v_mul_lo_u16 v20, 0x50, v215
	v_and_b32_e32 v20, 0xffff, v20
	s_delay_alu instid0(VALU_DEP_1) | instskip(NEXT) | instid1(VALU_DEP_1)
	v_add_co_u32 v24, s0, s2, v20
	v_add_co_ci_u32_e64 v25, null, s3, 0, s0
	ds_load_b128 v[20:23], v160 offset:9600
	global_load_b128 v[28:31], v[24:25], off offset:800
	s_waitcnt vmcnt(0) lgkmcnt(0)
	v_mul_f64 v[26:27], v[22:23], v[30:31]
	scratch_store_b128 off, v[28:31], off offset:1304 ; 16-byte Folded Spill
	v_fma_f64 v[146:147], v[20:21], v[28:29], -v[26:27]
	v_mul_f64 v[20:21], v[20:21], v[30:31]
	s_delay_alu instid0(VALU_DEP_1)
	v_fma_f64 v[152:153], v[22:23], v[28:29], v[20:21]
	global_load_b128 v[28:31], v[24:25], off offset:816
	ds_load_b128 v[20:23], v160 offset:15360
	s_waitcnt vmcnt(0) lgkmcnt(0)
	v_mul_f64 v[26:27], v[22:23], v[30:31]
	scratch_store_b128 off, v[28:31], off offset:1320 ; 16-byte Folded Spill
	v_fma_f64 v[154:155], v[20:21], v[28:29], -v[26:27]
	v_mul_f64 v[20:21], v[20:21], v[30:31]
	s_delay_alu instid0(VALU_DEP_1)
	v_fma_f64 v[156:157], v[22:23], v[28:29], v[20:21]
	global_load_b128 v[28:31], v[24:25], off offset:832
	ds_load_b128 v[20:23], v160 offset:21120
	;; [unrolled: 9-line block ×3, first 2 shown]
	s_waitcnt vmcnt(0) lgkmcnt(0)
	v_mul_f64 v[26:27], v[22:23], v[30:31]
	scratch_store_b128 off, v[28:31], off offset:1352 ; 16-byte Folded Spill
	v_fma_f64 v[164:165], v[20:21], v[28:29], -v[26:27]
	v_mul_f64 v[20:21], v[20:21], v[30:31]
	s_delay_alu instid0(VALU_DEP_2) | instskip(NEXT) | instid1(VALU_DEP_2)
	v_add_f64 v[40:41], v[154:155], v[164:165]
	v_fma_f64 v[166:167], v[22:23], v[28:29], v[20:21]
	global_load_b128 v[26:29], v[24:25], off offset:864
	ds_load_b128 v[20:23], v160 offset:32640
	s_waitcnt vmcnt(0) lgkmcnt(0)
	v_mul_f64 v[24:25], v[22:23], v[28:29]
	scratch_store_b128 off, v[26:29], off offset:1368 ; 16-byte Folded Spill
	v_fma_f64 v[170:171], v[20:21], v[26:27], -v[24:25]
	v_mul_f64 v[20:21], v[20:21], v[28:29]
	s_delay_alu instid0(VALU_DEP_1) | instskip(SKIP_1) | instid1(VALU_DEP_1)
	v_fma_f64 v[168:169], v[22:23], v[26:27], v[20:21]
	v_mul_u32_u24_e32 v20, 0x8889, v196
	v_lshrrev_b32_e32 v20, 21, v20
	s_delay_alu instid0(VALU_DEP_1) | instskip(NEXT) | instid1(VALU_DEP_1)
	v_mul_lo_u16 v20, v20, 60
	v_sub_nc_u16 v216, v195, v20
	s_delay_alu instid0(VALU_DEP_1) | instskip(NEXT) | instid1(VALU_DEP_1)
	v_mul_lo_u16 v20, 0x50, v216
	v_and_b32_e32 v20, 0xffff, v20
	s_delay_alu instid0(VALU_DEP_1) | instskip(NEXT) | instid1(VALU_DEP_1)
	v_add_co_u32 v24, s0, s2, v20
	v_add_co_ci_u32_e64 v25, null, s3, 0, s0
	ds_load_b128 v[20:23], v160 offset:10560
	global_load_b128 v[28:31], v[24:25], off offset:800
	s_waitcnt vmcnt(0) lgkmcnt(0)
	v_mul_f64 v[26:27], v[22:23], v[30:31]
	scratch_store_b128 off, v[28:31], off offset:1388 ; 16-byte Folded Spill
	v_fma_f64 v[172:173], v[20:21], v[28:29], -v[26:27]
	v_mul_f64 v[20:21], v[20:21], v[30:31]
	s_delay_alu instid0(VALU_DEP_1)
	v_fma_f64 v[174:175], v[22:23], v[28:29], v[20:21]
	global_load_b128 v[28:31], v[24:25], off offset:816
	ds_load_b128 v[20:23], v160 offset:16320
	s_waitcnt vmcnt(0) lgkmcnt(0)
	v_mul_f64 v[26:27], v[22:23], v[30:31]
	scratch_store_b128 off, v[28:31], off offset:1404 ; 16-byte Folded Spill
	v_fma_f64 v[176:177], v[20:21], v[28:29], -v[26:27]
	v_mul_f64 v[20:21], v[20:21], v[30:31]
	s_delay_alu instid0(VALU_DEP_1)
	v_fma_f64 v[178:179], v[22:23], v[28:29], v[20:21]
	global_load_b128 v[28:31], v[24:25], off offset:832
	ds_load_b128 v[20:23], v160 offset:22080
	;; [unrolled: 9-line block ×3, first 2 shown]
	s_waitcnt vmcnt(0) lgkmcnt(0)
	v_mul_f64 v[26:27], v[22:23], v[30:31]
	scratch_store_b128 off, v[28:31], off offset:1436 ; 16-byte Folded Spill
	v_fma_f64 v[184:185], v[20:21], v[28:29], -v[26:27]
	v_mul_f64 v[20:21], v[20:21], v[30:31]
	s_delay_alu instid0(VALU_DEP_2) | instskip(NEXT) | instid1(VALU_DEP_2)
	v_add_f64 v[56:57], v[176:177], v[184:185]
	v_fma_f64 v[186:187], v[22:23], v[28:29], v[20:21]
	global_load_b128 v[26:29], v[24:25], off offset:864
	ds_load_b128 v[20:23], v160 offset:33600
	s_waitcnt vmcnt(0) lgkmcnt(0)
	v_mul_f64 v[24:25], v[22:23], v[28:29]
	scratch_store_b128 off, v[26:29], off offset:1452 ; 16-byte Folded Spill
	v_fma_f64 v[190:191], v[20:21], v[26:27], -v[24:25]
	v_mul_f64 v[20:21], v[20:21], v[28:29]
	v_add_f64 v[24:25], v[76:77], v[94:95]
	s_delay_alu instid0(VALU_DEP_2)
	v_fma_f64 v[188:189], v[22:23], v[26:27], v[20:21]
	ds_load_b128 v[20:23], v160
	v_add_f64 v[26:27], v[74:75], v[86:87]
	s_waitcnt lgkmcnt(0)
	v_fma_f64 v[192:193], v[24:25], -0.5, v[20:21]
	v_add_f64 v[24:25], v[80:81], v[98:99]
	v_add_f64 v[20:21], v[20:21], v[76:77]
	s_delay_alu instid0(VALU_DEP_4) | instskip(NEXT) | instid1(VALU_DEP_3)
	v_add_f64 v[26:27], v[26:27], v[102:103]
	v_fma_f64 v[194:195], v[24:25], -0.5, v[22:23]
	v_add_f64 v[24:25], v[70:71], v[90:91]
	v_add_f64 v[22:23], v[22:23], v[80:81]
	v_add_f64 v[20:21], v[20:21], v[94:95]
	s_delay_alu instid0(VALU_DEP_3) | instskip(NEXT) | instid1(VALU_DEP_3)
	v_add_f64 v[24:25], v[24:25], v[106:107]
	v_add_f64 v[22:23], v[22:23], v[98:99]
	s_delay_alu instid0(VALU_DEP_2) | instskip(SKIP_2) | instid1(VALU_DEP_4)
	v_add_f64 v[48:49], v[20:21], v[24:25]
	v_add_f64 v[52:53], v[20:21], -v[24:25]
	v_add_f64 v[24:25], v[82:83], v[96:97]
	v_add_f64 v[50:51], v[22:23], v[26:27]
	v_add_f64 v[54:55], v[22:23], -v[26:27]
	ds_load_b128 v[20:23], v160 offset:960
	v_add_f64 v[26:27], v[78:79], v[88:89]
	s_waitcnt lgkmcnt(0)
	v_fma_f64 v[196:197], v[24:25], -0.5, v[20:21]
	v_add_f64 v[24:25], v[84:85], v[100:101]
	v_add_f64 v[20:21], v[20:21], v[82:83]
	v_add_f64 v[82:83], v[82:83], -v[96:97]
	v_add_f64 v[26:27], v[26:27], v[118:119]
	s_delay_alu instid0(VALU_DEP_4) | instskip(SKIP_4) | instid1(VALU_DEP_4)
	v_fma_f64 v[198:199], v[24:25], -0.5, v[22:23]
	v_add_f64 v[24:25], v[72:73], v[92:93]
	v_add_f64 v[22:23], v[22:23], v[84:85]
	;; [unrolled: 1-line block ×3, first 2 shown]
	v_add_f64 v[84:85], v[84:85], -v[100:101]
	v_add_f64 v[24:25], v[24:25], v[120:121]
	s_delay_alu instid0(VALU_DEP_4) | instskip(SKIP_1) | instid1(VALU_DEP_3)
	v_add_f64 v[22:23], v[22:23], v[100:101]
	v_add_f64 v[100:101], v[110:111], -v[122:123]
	v_add_f64 v[60:61], v[20:21], v[24:25]
	v_add_f64 v[64:65], v[20:21], -v[24:25]
	v_add_f64 v[24:25], v[110:111], v[122:123]
	v_add_f64 v[62:63], v[22:23], v[26:27]
	v_add_f64 v[66:67], v[22:23], -v[26:27]
	ds_load_b128 v[20:23], v160 offset:1920
	s_waitcnt lgkmcnt(0)
	v_fma_f64 v[200:201], v[24:25], -0.5, v[20:21]
	v_add_f64 v[24:25], v[112:113], v[124:125]
	v_add_f64 v[20:21], v[20:21], v[110:111]
	v_add_f64 v[110:111], v[140:141], -v[150:151]
	s_delay_alu instid0(VALU_DEP_3) | instskip(SKIP_3) | instid1(VALU_DEP_3)
	v_fma_f64 v[202:203], v[24:25], -0.5, v[22:23]
	v_add_f64 v[24:25], v[104:105], v[116:117]
	v_add_f64 v[22:23], v[22:23], v[112:113]
	;; [unrolled: 1-line block ×5, first 2 shown]
	s_delay_alu instid0(VALU_DEP_4) | instskip(NEXT) | instid1(VALU_DEP_2)
	v_add_f64 v[22:23], v[22:23], v[124:125]
	v_add_f64 v[30:31], v[24:25], v[126:127]
	s_delay_alu instid0(VALU_DEP_4) | instskip(SKIP_1) | instid1(VALU_DEP_3)
	v_add_f64 v[24:25], v[20:21], v[28:29]
	v_add_f64 v[28:29], v[20:21], -v[28:29]
	v_add_f64 v[26:27], v[22:23], v[30:31]
	v_add_f64 v[30:31], v[22:23], -v[30:31]
	ds_load_b128 v[20:23], v160 offset:2880
	s_waitcnt lgkmcnt(0)
	v_fma_f64 v[204:205], v[32:33], -0.5, v[20:21]
	v_add_f64 v[32:33], v[136:137], v[144:145]
	v_add_f64 v[20:21], v[20:21], v[134:135]
	s_delay_alu instid0(VALU_DEP_2) | instskip(SKIP_2) | instid1(VALU_DEP_4)
	v_fma_f64 v[206:207], v[32:33], -0.5, v[22:23]
	v_add_f64 v[32:33], v[130:131], v[140:141]
	v_add_f64 v[22:23], v[22:23], v[136:137]
	;; [unrolled: 1-line block ×3, first 2 shown]
	s_delay_alu instid0(VALU_DEP_3) | instskip(SKIP_1) | instid1(VALU_DEP_4)
	v_add_f64 v[36:37], v[32:33], v[150:151]
	v_add_f64 v[32:33], v[132:133], v[138:139]
	;; [unrolled: 1-line block ×3, first 2 shown]
	s_delay_alu instid0(VALU_DEP_2) | instskip(NEXT) | instid1(VALU_DEP_4)
	v_add_f64 v[38:39], v[32:33], v[148:149]
	v_add_f64 v[32:33], v[20:21], v[36:37]
	v_add_f64 v[36:37], v[20:21], -v[36:37]
	s_delay_alu instid0(VALU_DEP_3)
	v_add_f64 v[34:35], v[22:23], v[38:39]
	v_add_f64 v[38:39], v[22:23], -v[38:39]
	ds_load_b128 v[20:23], v160 offset:3840
	s_waitcnt lgkmcnt(0)
	v_fma_f64 v[208:209], v[40:41], -0.5, v[20:21]
	v_add_f64 v[40:41], v[156:157], v[166:167]
	v_add_f64 v[20:21], v[20:21], v[154:155]
	s_delay_alu instid0(VALU_DEP_2) | instskip(SKIP_2) | instid1(VALU_DEP_4)
	v_fma_f64 v[210:211], v[40:41], -0.5, v[22:23]
	v_add_f64 v[40:41], v[146:147], v[162:163]
	v_add_f64 v[22:23], v[22:23], v[156:157]
	v_add_f64 v[20:21], v[20:21], v[164:165]
	s_delay_alu instid0(VALU_DEP_3) | instskip(SKIP_1) | instid1(VALU_DEP_4)
	v_add_f64 v[44:45], v[40:41], v[170:171]
	v_add_f64 v[40:41], v[152:153], v[158:159]
	v_add_f64 v[22:23], v[22:23], v[166:167]
	s_delay_alu instid0(VALU_DEP_2) | instskip(NEXT) | instid1(VALU_DEP_4)
	v_add_f64 v[46:47], v[40:41], v[168:169]
	v_add_f64 v[40:41], v[20:21], v[44:45]
	v_add_f64 v[44:45], v[20:21], -v[44:45]
	s_delay_alu instid0(VALU_DEP_3)
	v_add_f64 v[42:43], v[22:23], v[46:47]
	v_add_f64 v[46:47], v[22:23], -v[46:47]
	ds_load_b128 v[20:23], v160 offset:4800
	s_waitcnt lgkmcnt(0)
	s_waitcnt_vscnt null, 0x0
	s_barrier
	buffer_gl0_inv
	ds_store_b128 v160, v[48:51]
	ds_store_b128 v160, v[52:55] offset:2880
	ds_store_b128 v160, v[60:63] offset:5760
	;; [unrolled: 1-line block ×3, first 2 shown]
	v_add_f64 v[48:49], v[90:91], v[106:107]
	v_add_f64 v[50:51], v[86:87], v[102:103]
	v_add_f64 v[60:61], v[90:91], -v[106:107]
	v_add_f64 v[66:67], v[76:77], -v[94:95]
	;; [unrolled: 1-line block ×3, first 2 shown]
	v_fma_f64 v[90:91], v[84:85], s[14:15], v[196:197]
	v_fma_f64 v[84:85], v[84:85], s[12:13], v[196:197]
	v_add_f64 v[94:95], v[116:117], -v[128:129]
	v_add_f64 v[98:99], v[112:113], -v[124:125]
	v_fma_f64 v[217:218], v[56:57], -0.5, v[20:21]
	v_add_f64 v[56:57], v[178:179], v[186:187]
	v_add_f64 v[20:21], v[20:21], v[176:177]
	v_fma_f64 v[70:71], v[48:49], -0.5, v[70:71]
	v_fma_f64 v[62:63], v[50:51], -0.5, v[74:75]
	v_add_f64 v[74:75], v[86:87], -v[102:103]
	v_fma_f64 v[80:81], v[66:67], s[12:13], v[194:195]
	v_fma_f64 v[66:67], v[66:67], s[14:15], v[194:195]
	;; [unrolled: 1-line block ×4, first 2 shown]
	v_add_f64 v[86:87], v[88:89], -v[118:119]
	v_add_f64 v[102:103], v[114:115], -v[126:127]
	v_fma_f64 v[106:107], v[98:99], s[14:15], v[200:201]
	v_fma_f64 v[98:99], v[98:99], s[12:13], v[200:201]
	v_fma_f64 v[219:220], v[56:57], -0.5, v[22:23]
	v_add_f64 v[56:57], v[20:21], v[184:185]
	v_add_f64 v[20:21], v[172:173], v[182:183]
	;; [unrolled: 1-line block ×3, first 2 shown]
	v_fma_f64 v[48:49], v[60:61], s[12:13], v[62:63]
	v_fma_f64 v[50:51], v[74:75], s[14:15], v[70:71]
	;; [unrolled: 1-line block ×4, first 2 shown]
	v_add_f64 v[221:222], v[20:21], v[190:191]
	v_add_f64 v[20:21], v[174:175], v[180:181]
	;; [unrolled: 1-line block ×3, first 2 shown]
	v_mul_f64 v[52:53], v[48:49], s[14:15]
	v_mul_f64 v[62:63], v[70:71], -0.5
	s_delay_alu instid0(VALU_DEP_4)
	v_add_f64 v[223:224], v[20:21], v[188:189]
	v_add_f64 v[20:21], v[56:57], v[221:222]
	v_add_f64 v[56:57], v[56:57], -v[221:222]
	v_fma_f64 v[52:53], v[50:51], 0.5, v[52:53]
	v_mul_f64 v[50:51], v[50:51], s[12:13]
	v_fma_f64 v[74:75], v[60:61], s[14:15], v[62:63]
	v_mul_f64 v[60:61], v[60:61], -0.5
	v_add_f64 v[22:23], v[58:59], v[223:224]
	v_add_f64 v[58:59], v[58:59], -v[223:224]
	v_fma_f64 v[54:55], v[48:49], 0.5, v[50:51]
	v_add_f64 v[48:49], v[76:77], v[52:53]
	v_fma_f64 v[70:71], v[70:71], s[12:13], v[60:61]
	v_add_f64 v[60:61], v[64:65], v[74:75]
	v_add_f64 v[64:65], v[64:65], -v[74:75]
	v_add_f64 v[74:75], v[88:89], v[118:119]
	v_add_f64 v[118:119], v[138:139], -v[148:149]
	v_add_f64 v[52:53], v[76:77], -v[52:53]
	v_add_f64 v[50:51], v[80:81], v[54:55]
	v_add_f64 v[54:55], v[80:81], -v[54:55]
	v_add_f64 v[62:63], v[66:67], v[70:71]
	;; [unrolled: 2-line block ×3, first 2 shown]
	v_add_f64 v[80:81], v[92:93], -v[120:121]
	v_fma_f64 v[78:79], v[74:75], -0.5, v[78:79]
	v_fma_f64 v[92:93], v[82:83], s[12:13], v[198:199]
	s_delay_alu instid0(VALU_DEP_4) | instskip(NEXT) | instid1(VALU_DEP_3)
	v_fma_f64 v[88:89], v[70:71], -0.5, v[72:73]
	v_fma_f64 v[70:71], v[80:81], s[12:13], v[78:79]
	v_fma_f64 v[78:79], v[80:81], s[14:15], v[78:79]
	s_delay_alu instid0(VALU_DEP_3) | instskip(SKIP_3) | instid1(VALU_DEP_3)
	v_fma_f64 v[72:73], v[86:87], s[14:15], v[88:89]
	v_fma_f64 v[86:87], v[86:87], s[12:13], v[88:89]
	;; [unrolled: 1-line block ×3, first 2 shown]
	v_mul_f64 v[74:75], v[70:71], s[14:15]
	v_mul_f64 v[80:81], v[86:87], -0.5
	s_delay_alu instid0(VALU_DEP_2) | instskip(SKIP_1) | instid1(VALU_DEP_3)
	v_fma_f64 v[74:75], v[72:73], 0.5, v[74:75]
	v_mul_f64 v[72:73], v[72:73], s[12:13]
	v_fma_f64 v[82:83], v[78:79], s[14:15], v[80:81]
	v_mul_f64 v[78:79], v[78:79], -0.5
	s_delay_alu instid0(VALU_DEP_3) | instskip(SKIP_2) | instid1(VALU_DEP_4)
	v_fma_f64 v[76:77], v[70:71], 0.5, v[72:73]
	v_add_f64 v[70:71], v[90:91], v[74:75]
	v_add_f64 v[74:75], v[90:91], -v[74:75]
	v_fma_f64 v[86:87], v[86:87], s[12:13], v[78:79]
	v_add_f64 v[78:79], v[84:85], v[82:83]
	v_add_f64 v[82:83], v[84:85], -v[82:83]
	v_add_f64 v[72:73], v[92:93], v[76:77]
	v_add_f64 v[76:77], v[92:93], -v[76:77]
	v_add_f64 v[80:81], v[88:89], v[86:87]
	v_add_f64 v[84:85], v[88:89], -v[86:87]
	v_add_f64 v[86:87], v[116:117], v[128:129]
	v_add_f64 v[88:89], v[114:115], v[126:127]
	v_add_f64 v[116:117], v[134:135], -v[142:143]
	v_add_f64 v[114:115], v[136:137], -v[144:145]
	;; [unrolled: 1-line block ×5, first 2 shown]
	ds_store_b128 v160, v[48:51] offset:960
	ds_store_b128 v160, v[60:63] offset:1920
	;; [unrolled: 1-line block ×8, first 2 shown]
	v_lshlrev_b32_e32 v48, 4, v213
	v_fma_f64 v[104:105], v[86:87], -0.5, v[104:105]
	v_fma_f64 v[96:97], v[88:89], -0.5, v[108:109]
	v_fma_f64 v[108:109], v[100:101], s[12:13], v[202:203]
	v_fma_f64 v[100:101], v[100:101], s[14:15], v[202:203]
	;; [unrolled: 1-line block ×10, first 2 shown]
	s_delay_alu instid0(VALU_DEP_3) | instskip(NEXT) | instid1(VALU_DEP_3)
	v_mul_f64 v[96:97], v[102:103], -0.5
	v_mul_f64 v[90:91], v[86:87], s[14:15]
	s_delay_alu instid0(VALU_DEP_2) | instskip(SKIP_1) | instid1(VALU_DEP_3)
	v_fma_f64 v[104:105], v[94:95], s[14:15], v[96:97]
	v_mul_f64 v[94:95], v[94:95], -0.5
	v_fma_f64 v[90:91], v[88:89], 0.5, v[90:91]
	v_mul_f64 v[88:89], v[88:89], s[12:13]
	s_delay_alu instid0(VALU_DEP_3)
	v_fma_f64 v[102:103], v[102:103], s[12:13], v[94:95]
	v_add_f64 v[94:95], v[98:99], v[104:105]
	v_add_f64 v[98:99], v[98:99], -v[104:105]
	v_add_f64 v[104:105], v[138:139], v[148:149]
	v_fma_f64 v[92:93], v[86:87], 0.5, v[88:89]
	v_add_f64 v[86:87], v[106:107], v[90:91]
	v_add_f64 v[90:91], v[106:107], -v[90:91]
	v_add_f64 v[148:149], v[176:177], -v[184:185]
	v_add_f64 v[96:97], v[100:101], v[102:103]
	v_add_f64 v[100:101], v[100:101], -v[102:103]
	v_add_f64 v[102:103], v[140:141], v[150:151]
	v_fma_f64 v[112:113], v[104:105], -0.5, v[132:133]
	v_add_f64 v[132:133], v[154:155], -v[164:165]
	v_add_f64 v[88:89], v[108:109], v[92:93]
	v_add_f64 v[92:93], v[108:109], -v[92:93]
	v_add_f64 v[150:151], v[180:181], -v[188:189]
	ds_store_b128 v48, v[24:27] offset:11520
	ds_store_b128 v48, v[86:89] offset:12480
	;; [unrolled: 1-line block ×5, first 2 shown]
	v_fma_f64 v[120:121], v[102:103], -0.5, v[130:131]
	v_fma_f64 v[102:103], v[110:111], s[12:13], v[112:113]
	v_fma_f64 v[110:111], v[110:111], s[14:15], v[112:113]
	v_add_f64 v[130:131], v[156:157], -v[166:167]
	v_fma_f64 v[140:141], v[132:133], s[12:13], v[210:211]
	v_fma_f64 v[132:133], v[132:133], s[14:15], v[210:211]
	v_fma_f64 v[156:157], v[148:149], s[12:13], v[219:220]
	v_fma_f64 v[148:149], v[148:149], s[14:15], v[219:220]
	v_lshlrev_b32_e32 v24, 4, v214
	scratch_store_b32 off, v48, off offset:1588 ; 4-byte Folded Spill
	ds_store_b128 v48, v[98:101] offset:16320
	v_fma_f64 v[104:105], v[118:119], s[14:15], v[120:121]
	v_fma_f64 v[118:119], v[118:119], s[12:13], v[120:121]
	v_mul_f64 v[106:107], v[102:103], s[14:15]
	v_fma_f64 v[138:139], v[130:131], s[14:15], v[208:209]
	v_fma_f64 v[130:131], v[130:131], s[12:13], v[208:209]
	s_delay_alu instid0(VALU_DEP_4) | instskip(NEXT) | instid1(VALU_DEP_4)
	v_mul_f64 v[112:113], v[118:119], -0.5
	v_fma_f64 v[106:107], v[104:105], 0.5, v[106:107]
	v_mul_f64 v[104:105], v[104:105], s[12:13]
	s_delay_alu instid0(VALU_DEP_3) | instskip(SKIP_1) | instid1(VALU_DEP_3)
	v_fma_f64 v[120:121], v[110:111], s[14:15], v[112:113]
	v_mul_f64 v[110:111], v[110:111], -0.5
	v_fma_f64 v[108:109], v[102:103], 0.5, v[104:105]
	v_add_f64 v[102:103], v[122:123], v[106:107]
	v_add_f64 v[106:107], v[122:123], -v[106:107]
	s_delay_alu instid0(VALU_DEP_4)
	v_fma_f64 v[118:119], v[118:119], s[12:13], v[110:111]
	v_add_f64 v[110:111], v[114:115], v[120:121]
	v_add_f64 v[114:115], v[114:115], -v[120:121]
	v_add_f64 v[120:121], v[158:159], v[168:169]
	v_add_f64 v[104:105], v[124:125], v[108:109]
	v_add_f64 v[108:109], v[124:125], -v[108:109]
	v_add_f64 v[112:113], v[116:117], v[118:119]
	v_add_f64 v[116:117], v[116:117], -v[118:119]
	v_add_f64 v[118:119], v[162:163], v[170:171]
	v_fma_f64 v[128:129], v[120:121], -0.5, v[152:153]
	ds_store_b128 v24, v[32:35] offset:17280
	ds_store_b128 v24, v[102:105] offset:18240
	ds_store_b128 v24, v[110:113] offset:19200
	ds_store_b128 v24, v[36:39] offset:20160
	ds_store_b128 v24, v[106:109] offset:21120
	scratch_store_b32 off, v24, off offset:1552 ; 4-byte Folded Spill
	ds_store_b128 v24, v[114:117] offset:22080
	v_fma_f64 v[136:137], v[118:119], -0.5, v[146:147]
	v_fma_f64 v[118:119], v[126:127], s[12:13], v[128:129]
	v_fma_f64 v[126:127], v[126:127], s[14:15], v[128:129]
	v_add_f64 v[146:147], v[178:179], -v[186:187]
	v_and_b32_e32 v24, 0xffff, v215
	s_delay_alu instid0(VALU_DEP_1)
	v_lshlrev_b32_e32 v24, 4, v24
	v_fma_f64 v[120:121], v[134:135], s[14:15], v[136:137]
	v_fma_f64 v[134:135], v[134:135], s[12:13], v[136:137]
	v_mul_f64 v[122:123], v[118:119], s[14:15]
	v_fma_f64 v[154:155], v[146:147], s[14:15], v[217:218]
	v_fma_f64 v[146:147], v[146:147], s[12:13], v[217:218]
	s_delay_alu instid0(VALU_DEP_4) | instskip(NEXT) | instid1(VALU_DEP_4)
	v_mul_f64 v[128:129], v[134:135], -0.5
	v_fma_f64 v[122:123], v[120:121], 0.5, v[122:123]
	v_mul_f64 v[120:121], v[120:121], s[12:13]
	s_delay_alu instid0(VALU_DEP_3) | instskip(SKIP_1) | instid1(VALU_DEP_3)
	v_fma_f64 v[136:137], v[126:127], s[14:15], v[128:129]
	v_mul_f64 v[126:127], v[126:127], -0.5
	v_fma_f64 v[124:125], v[118:119], 0.5, v[120:121]
	v_add_f64 v[118:119], v[138:139], v[122:123]
	v_add_f64 v[122:123], v[138:139], -v[122:123]
	s_delay_alu instid0(VALU_DEP_4)
	v_fma_f64 v[134:135], v[134:135], s[12:13], v[126:127]
	v_add_f64 v[126:127], v[130:131], v[136:137]
	v_add_f64 v[130:131], v[130:131], -v[136:137]
	v_add_f64 v[136:137], v[180:181], v[188:189]
	v_add_f64 v[120:121], v[140:141], v[124:125]
	v_add_f64 v[124:125], v[140:141], -v[124:125]
	v_add_f64 v[128:129], v[132:133], v[134:135]
	v_add_f64 v[132:133], v[132:133], -v[134:135]
	v_add_f64 v[134:135], v[182:183], v[190:191]
	v_fma_f64 v[144:145], v[136:137], -0.5, v[174:175]
	ds_store_b128 v24, v[40:43] offset:23040
	ds_store_b128 v24, v[118:121] offset:24000
	;; [unrolled: 1-line block ×5, first 2 shown]
	scratch_store_b32 off, v24, off offset:1500 ; 4-byte Folded Spill
	ds_store_b128 v24, v[130:133] offset:27840
	v_fma_f64 v[152:153], v[134:135], -0.5, v[172:173]
	v_fma_f64 v[134:135], v[142:143], s[12:13], v[144:145]
	v_fma_f64 v[142:143], v[142:143], s[14:15], v[144:145]
	v_and_b32_e32 v24, 0xffff, v216
	s_delay_alu instid0(VALU_DEP_1) | instskip(SKIP_3) | instid1(VALU_DEP_2)
	v_lshlrev_b32_e32 v24, 4, v24
	v_fma_f64 v[136:137], v[150:151], s[14:15], v[152:153]
	v_fma_f64 v[150:151], v[150:151], s[12:13], v[152:153]
	v_mul_f64 v[138:139], v[134:135], s[14:15]
	v_mul_f64 v[144:145], v[150:151], -0.5
	s_delay_alu instid0(VALU_DEP_2) | instskip(SKIP_1) | instid1(VALU_DEP_3)
	v_fma_f64 v[138:139], v[136:137], 0.5, v[138:139]
	v_mul_f64 v[136:137], v[136:137], s[12:13]
	v_fma_f64 v[152:153], v[142:143], s[14:15], v[144:145]
	v_mul_f64 v[142:143], v[142:143], -0.5
	s_delay_alu instid0(VALU_DEP_3) | instskip(SKIP_2) | instid1(VALU_DEP_4)
	v_fma_f64 v[140:141], v[134:135], 0.5, v[136:137]
	v_add_f64 v[134:135], v[154:155], v[138:139]
	v_add_f64 v[138:139], v[154:155], -v[138:139]
	v_fma_f64 v[150:151], v[150:151], s[12:13], v[142:143]
	s_delay_alu instid0(VALU_DEP_4)
	v_add_f64 v[136:137], v[156:157], v[140:141]
	v_add_f64 v[142:143], v[146:147], v[152:153]
	v_add_f64 v[146:147], v[146:147], -v[152:153]
	v_add_f64 v[140:141], v[156:157], -v[140:141]
	v_add_f64 v[144:145], v[148:149], v[150:151]
	v_add_f64 v[148:149], v[148:149], -v[150:151]
	ds_store_b128 v24, v[134:137] offset:29760
	ds_store_b128 v24, v[142:145] offset:30720
	;; [unrolled: 1-line block ×5, first 2 shown]
	scratch_store_b32 off, v24, off offset:1476 ; 4-byte Folded Spill
	ds_store_b128 v24, v[146:149] offset:33600
	v_add_co_u32 v24, s0, 0x1000, v68
	s_delay_alu instid0(VALU_DEP_1)
	v_add_co_ci_u32_e64 v25, s0, 0, v69, s0
	s_waitcnt lgkmcnt(0)
	s_waitcnt_vscnt null, 0x0
	s_barrier
	buffer_gl0_inv
	global_load_b128 v[28:31], v[24:25], off offset:1504
	ds_load_b128 v[20:23], v160 offset:5760
	ds_load_b128 v[220:223], v160 offset:3840
	s_waitcnt vmcnt(0) lgkmcnt(1)
	v_mul_f64 v[26:27], v[22:23], v[30:31]
	scratch_store_b128 off, v[28:31], off offset:1484 ; 16-byte Folded Spill
	v_fma_f64 v[44:45], v[20:21], v[28:29], -v[26:27]
	v_add_co_u32 v26, s0, 0x15e0, v68
	s_delay_alu instid0(VALU_DEP_1)
	v_add_co_ci_u32_e64 v27, s0, 0, v69, s0
	v_mul_f64 v[20:21], v[20:21], v[30:31]
	global_load_b128 v[30:33], v[26:27], off offset:16
	v_fma_f64 v[46:47], v[22:23], v[28:29], v[20:21]
	ds_load_b128 v[20:23], v160 offset:11520
	s_waitcnt vmcnt(0) lgkmcnt(0)
	v_mul_f64 v[28:29], v[22:23], v[32:33]
	scratch_store_b128 off, v[30:33], off offset:1504 ; 16-byte Folded Spill
	v_fma_f64 v[48:49], v[20:21], v[30:31], -v[28:29]
	v_mul_f64 v[20:21], v[20:21], v[32:33]
	s_delay_alu instid0(VALU_DEP_1)
	v_fma_f64 v[50:51], v[22:23], v[30:31], v[20:21]
	global_load_b128 v[30:33], v[26:27], off offset:32
	ds_load_b128 v[20:23], v160 offset:17280
	s_waitcnt vmcnt(0) lgkmcnt(0)
	v_mul_f64 v[28:29], v[22:23], v[32:33]
	scratch_store_b128 off, v[30:33], off offset:1520 ; 16-byte Folded Spill
	v_fma_f64 v[54:55], v[20:21], v[30:31], -v[28:29]
	v_mul_f64 v[20:21], v[20:21], v[32:33]
	s_delay_alu instid0(VALU_DEP_1)
	v_fma_f64 v[52:53], v[22:23], v[30:31], v[20:21]
	global_load_b128 v[28:31], v[26:27], off offset:48
	ds_load_b128 v[20:23], v160 offset:23040
	s_waitcnt vmcnt(0) lgkmcnt(0)
	v_mul_f64 v[26:27], v[22:23], v[30:31]
	scratch_store_b128 off, v[28:31], off offset:1536 ; 16-byte Folded Spill
	v_fma_f64 v[56:57], v[20:21], v[28:29], -v[26:27]
	v_mul_f64 v[20:21], v[20:21], v[30:31]
	s_delay_alu instid0(VALU_DEP_1)
	v_fma_f64 v[58:59], v[22:23], v[28:29], v[20:21]
	global_load_b128 v[26:29], v[24:25], off offset:1568
	ds_load_b128 v[20:23], v160 offset:28800
	s_waitcnt vmcnt(0) lgkmcnt(0)
	v_mul_f64 v[24:25], v[22:23], v[28:29]
	scratch_store_b128 off, v[26:29], off offset:1556 ; 16-byte Folded Spill
	v_fma_f64 v[62:63], v[20:21], v[26:27], -v[24:25]
	v_mul_f64 v[20:21], v[20:21], v[28:29]
	v_mad_u64_u32 v[24:25], null, 0x50, v212, s[2:3]
	s_add_u32 s2, s10, 0x8700
	s_addc_u32 s3, s11, 0
	s_delay_alu instid0(VALU_DEP_2) | instskip(NEXT) | instid1(VALU_DEP_2)
	v_fma_f64 v[60:61], v[22:23], v[26:27], v[20:21]
	v_add_co_u32 v26, s0, 0x1000, v24
	s_delay_alu instid0(VALU_DEP_1)
	v_add_co_ci_u32_e64 v27, s0, 0, v25, s0
	ds_load_b128 v[20:23], v160 offset:6720
	global_load_b128 v[30:33], v[26:27], off offset:1504
	s_waitcnt vmcnt(0) lgkmcnt(0)
	v_mul_f64 v[28:29], v[22:23], v[32:33]
	scratch_store_b128 off, v[30:33], off offset:1572 ; 16-byte Folded Spill
	v_fma_f64 v[64:65], v[20:21], v[30:31], -v[28:29]
	v_add_co_u32 v28, s0, 0x15e0, v24
	s_delay_alu instid0(VALU_DEP_1)
	v_add_co_ci_u32_e64 v29, s0, 0, v25, s0
	v_mul_f64 v[20:21], v[20:21], v[32:33]
	global_load_b128 v[32:35], v[28:29], off offset:16
	v_fma_f64 v[66:67], v[22:23], v[30:31], v[20:21]
	ds_load_b128 v[20:23], v160 offset:12480
	s_waitcnt vmcnt(0) lgkmcnt(0)
	v_mul_f64 v[30:31], v[22:23], v[34:35]
	scratch_store_b128 off, v[32:35], off offset:1592 ; 16-byte Folded Spill
	v_fma_f64 v[68:69], v[20:21], v[32:33], -v[30:31]
	v_mul_f64 v[20:21], v[20:21], v[34:35]
	s_delay_alu instid0(VALU_DEP_1)
	v_fma_f64 v[70:71], v[22:23], v[32:33], v[20:21]
	global_load_b128 v[32:35], v[28:29], off offset:32
	ds_load_b128 v[20:23], v160 offset:18240
	s_waitcnt vmcnt(0) lgkmcnt(0)
	v_mul_f64 v[30:31], v[22:23], v[34:35]
	scratch_store_b128 off, v[32:35], off offset:1608 ; 16-byte Folded Spill
	v_fma_f64 v[74:75], v[20:21], v[32:33], -v[30:31]
	v_mul_f64 v[20:21], v[20:21], v[34:35]
	s_delay_alu instid0(VALU_DEP_1)
	v_fma_f64 v[72:73], v[22:23], v[32:33], v[20:21]
	global_load_b128 v[30:33], v[28:29], off offset:48
	;; [unrolled: 9-line block ×3, first 2 shown]
	ds_load_b128 v[20:23], v160 offset:29760
	s_waitcnt vmcnt(0) lgkmcnt(0)
	v_mul_f64 v[26:27], v[22:23], v[30:31]
	scratch_store_b128 off, v[28:31], off offset:1640 ; 16-byte Folded Spill
	v_fma_f64 v[82:83], v[20:21], v[28:29], -v[26:27]
	v_add_co_u32 v26, s0, 0x2000, v24
	s_delay_alu instid0(VALU_DEP_1)
	v_add_co_ci_u32_e64 v27, s0, 0, v25, s0
	v_mul_f64 v[20:21], v[20:21], v[30:31]
	global_load_b128 v[30:33], v[26:27], off offset:2208
	v_fma_f64 v[80:81], v[22:23], v[28:29], v[20:21]
	ds_load_b128 v[20:23], v160 offset:7680
	s_waitcnt vmcnt(0) lgkmcnt(0)
	v_mul_f64 v[28:29], v[22:23], v[32:33]
	scratch_store_b128 off, v[30:33], off offset:1656 ; 16-byte Folded Spill
	v_fma_f64 v[84:85], v[20:21], v[30:31], -v[28:29]
	v_add_co_u32 v28, s0, 0x28a0, v24
	s_delay_alu instid0(VALU_DEP_1)
	v_add_co_ci_u32_e64 v29, s0, 0, v25, s0
	v_mul_f64 v[20:21], v[20:21], v[32:33]
	global_load_b128 v[32:35], v[28:29], off offset:16
	v_fma_f64 v[86:87], v[22:23], v[30:31], v[20:21]
	ds_load_b128 v[20:23], v160 offset:13440
	s_waitcnt vmcnt(0) lgkmcnt(0)
	v_mul_f64 v[30:31], v[22:23], v[34:35]
	scratch_store_b128 off, v[32:35], off offset:1672 ; 16-byte Folded Spill
	v_fma_f64 v[88:89], v[20:21], v[32:33], -v[30:31]
	v_mul_f64 v[20:21], v[20:21], v[34:35]
	s_delay_alu instid0(VALU_DEP_1)
	v_fma_f64 v[90:91], v[22:23], v[32:33], v[20:21]
	global_load_b128 v[32:35], v[28:29], off offset:32
	ds_load_b128 v[20:23], v160 offset:19200
	s_waitcnt vmcnt(0) lgkmcnt(0)
	v_mul_f64 v[30:31], v[22:23], v[34:35]
	scratch_store_b128 off, v[32:35], off offset:1688 ; 16-byte Folded Spill
	v_fma_f64 v[94:95], v[20:21], v[32:33], -v[30:31]
	v_mul_f64 v[20:21], v[20:21], v[34:35]
	s_delay_alu instid0(VALU_DEP_1)
	v_fma_f64 v[92:93], v[22:23], v[32:33], v[20:21]
	global_load_b128 v[30:33], v[28:29], off offset:48
	ds_load_b128 v[20:23], v160 offset:24960
	s_waitcnt vmcnt(0) lgkmcnt(0)
	v_mul_f64 v[28:29], v[22:23], v[32:33]
	scratch_store_b128 off, v[30:33], off offset:1704 ; 16-byte Folded Spill
	v_fma_f64 v[96:97], v[20:21], v[30:31], -v[28:29]
	v_mul_f64 v[20:21], v[20:21], v[32:33]
	s_delay_alu instid0(VALU_DEP_2) | instskip(NEXT) | instid1(VALU_DEP_2)
	v_add_f64 v[40:41], v[88:89], v[96:97]
	v_fma_f64 v[98:99], v[22:23], v[30:31], v[20:21]
	global_load_b128 v[28:31], v[26:27], off offset:2272
	ds_load_b128 v[20:23], v160 offset:30720
	s_waitcnt vmcnt(0) lgkmcnt(0)
	v_mul_f64 v[26:27], v[22:23], v[30:31]
	scratch_store_b128 off, v[28:31], off offset:1720 ; 16-byte Folded Spill
	v_fma_f64 v[102:103], v[20:21], v[28:29], -v[26:27]
	v_add_co_u32 v26, s0, 0x3000, v24
	s_delay_alu instid0(VALU_DEP_1)
	v_add_co_ci_u32_e64 v27, s0, 0, v25, s0
	v_mul_f64 v[20:21], v[20:21], v[30:31]
	global_load_b128 v[30:33], v[26:27], off offset:2912
	v_fma_f64 v[100:101], v[22:23], v[28:29], v[20:21]
	ds_load_b128 v[20:23], v160 offset:8640
	s_waitcnt vmcnt(0) lgkmcnt(0)
	v_mul_f64 v[28:29], v[22:23], v[32:33]
	scratch_store_b128 off, v[30:33], off offset:1736 ; 16-byte Folded Spill
	v_fma_f64 v[104:105], v[20:21], v[30:31], -v[28:29]
	v_add_co_u32 v28, s0, 0x3b60, v24
	s_delay_alu instid0(VALU_DEP_1)
	v_add_co_ci_u32_e64 v29, s0, 0, v25, s0
	v_mul_f64 v[20:21], v[20:21], v[32:33]
	global_load_b128 v[32:35], v[28:29], off offset:16
	v_fma_f64 v[106:107], v[22:23], v[30:31], v[20:21]
	ds_load_b128 v[20:23], v160 offset:14400
	s_waitcnt vmcnt(0) lgkmcnt(0)
	v_mul_f64 v[30:31], v[22:23], v[34:35]
	scratch_store_b128 off, v[32:35], off offset:1752 ; 16-byte Folded Spill
	v_fma_f64 v[108:109], v[20:21], v[32:33], -v[30:31]
	v_mul_f64 v[20:21], v[20:21], v[34:35]
	s_delay_alu instid0(VALU_DEP_1)
	v_fma_f64 v[110:111], v[22:23], v[32:33], v[20:21]
	global_load_b128 v[32:35], v[28:29], off offset:32
	ds_load_b128 v[20:23], v160 offset:20160
	s_waitcnt vmcnt(0) lgkmcnt(0)
	v_mul_f64 v[30:31], v[22:23], v[34:35]
	scratch_store_b128 off, v[32:35], off offset:1768 ; 16-byte Folded Spill
	v_fma_f64 v[114:115], v[20:21], v[32:33], -v[30:31]
	v_mul_f64 v[20:21], v[20:21], v[34:35]
	s_delay_alu instid0(VALU_DEP_1)
	v_fma_f64 v[112:113], v[22:23], v[32:33], v[20:21]
	global_load_b128 v[30:33], v[28:29], off offset:48
	ds_load_b128 v[20:23], v160 offset:25920
	s_waitcnt vmcnt(0) lgkmcnt(0)
	v_mul_f64 v[28:29], v[22:23], v[32:33]
	scratch_store_b128 off, v[30:33], off offset:1784 ; 16-byte Folded Spill
	v_fma_f64 v[116:117], v[20:21], v[30:31], -v[28:29]
	v_mul_f64 v[20:21], v[20:21], v[32:33]
	s_delay_alu instid0(VALU_DEP_2) | instskip(NEXT) | instid1(VALU_DEP_2)
	v_add_f64 v[164:165], v[108:109], v[116:117]
	v_fma_f64 v[118:119], v[22:23], v[30:31], v[20:21]
	global_load_b128 v[28:31], v[26:27], off offset:2976
	ds_load_b128 v[20:23], v160 offset:31680
	s_waitcnt vmcnt(0) lgkmcnt(0)
	v_mul_f64 v[26:27], v[22:23], v[30:31]
	scratch_store_b128 off, v[28:31], off offset:1800 ; 16-byte Folded Spill
	v_fma_f64 v[122:123], v[20:21], v[28:29], -v[26:27]
	v_add_co_u32 v26, s0, 0x4000, v24
	s_delay_alu instid0(VALU_DEP_1)
	v_add_co_ci_u32_e64 v27, s0, 0, v25, s0
	v_mul_f64 v[20:21], v[20:21], v[30:31]
	global_load_b128 v[30:33], v[26:27], off offset:3616
	v_fma_f64 v[120:121], v[22:23], v[28:29], v[20:21]
	ds_load_b128 v[20:23], v160 offset:9600
	s_waitcnt vmcnt(0) lgkmcnt(0)
	v_mul_f64 v[28:29], v[22:23], v[32:33]
	scratch_store_b128 off, v[30:33], off offset:1816 ; 16-byte Folded Spill
	v_fma_f64 v[124:125], v[20:21], v[30:31], -v[28:29]
	v_add_co_u32 v28, s0, 0x4e20, v24
	s_delay_alu instid0(VALU_DEP_1)
	v_add_co_ci_u32_e64 v29, s0, 0, v25, s0
	v_mul_f64 v[20:21], v[20:21], v[32:33]
	global_load_b128 v[32:35], v[28:29], off offset:16
	v_fma_f64 v[126:127], v[22:23], v[30:31], v[20:21]
	ds_load_b128 v[20:23], v160 offset:15360
	s_waitcnt vmcnt(0) lgkmcnt(0)
	v_mul_f64 v[30:31], v[22:23], v[34:35]
	scratch_store_b128 off, v[32:35], off offset:1832 ; 16-byte Folded Spill
	v_fma_f64 v[132:133], v[20:21], v[32:33], -v[30:31]
	v_mul_f64 v[20:21], v[20:21], v[34:35]
	s_delay_alu instid0(VALU_DEP_1)
	v_fma_f64 v[134:135], v[22:23], v[32:33], v[20:21]
	global_load_b128 v[32:35], v[28:29], off offset:32
	ds_load_b128 v[20:23], v160 offset:21120
	s_waitcnt vmcnt(0) lgkmcnt(0)
	v_mul_f64 v[30:31], v[22:23], v[34:35]
	scratch_store_b128 off, v[32:35], off offset:1848 ; 16-byte Folded Spill
	v_fma_f64 v[138:139], v[20:21], v[32:33], -v[30:31]
	v_mul_f64 v[20:21], v[20:21], v[34:35]
	s_delay_alu instid0(VALU_DEP_2) | instskip(NEXT) | instid1(VALU_DEP_2)
	v_add_f64 v[188:189], v[124:125], v[138:139]
	v_fma_f64 v[136:137], v[22:23], v[32:33], v[20:21]
	global_load_b128 v[30:33], v[28:29], off offset:48
	ds_load_b128 v[20:23], v160 offset:26880
	v_add_f64 v[190:191], v[126:127], v[136:137]
	s_waitcnt vmcnt(0) lgkmcnt(0)
	v_mul_f64 v[28:29], v[22:23], v[32:33]
	scratch_store_b128 off, v[30:33], off offset:1864 ; 16-byte Folded Spill
	v_fma_f64 v[140:141], v[20:21], v[30:31], -v[28:29]
	v_mul_f64 v[20:21], v[20:21], v[32:33]
	s_delay_alu instid0(VALU_DEP_1)
	v_fma_f64 v[142:143], v[22:23], v[30:31], v[20:21]
	global_load_b128 v[28:31], v[26:27], off offset:3680
	ds_load_b128 v[20:23], v160 offset:32640
	s_waitcnt vmcnt(0) lgkmcnt(0)
	v_mul_f64 v[26:27], v[22:23], v[30:31]
	scratch_store_b128 off, v[28:31], off offset:1880 ; 16-byte Folded Spill
	v_fma_f64 v[146:147], v[20:21], v[28:29], -v[26:27]
	v_add_co_u32 v26, s0, 0x6000, v24
	s_delay_alu instid0(VALU_DEP_1)
	v_add_co_ci_u32_e64 v27, s0, 0, v25, s0
	v_mul_f64 v[20:21], v[20:21], v[30:31]
	v_add_co_u32 v24, s0, 0x60e0, v24
	global_load_b128 v[30:33], v[26:27], off offset:224
	v_add_co_ci_u32_e64 v25, s0, 0, v25, s0
	v_add_f64 v[188:189], v[188:189], v[146:147]
	v_fma_f64 v[144:145], v[22:23], v[28:29], v[20:21]
	ds_load_b128 v[20:23], v160 offset:10560
	v_add_f64 v[190:191], v[190:191], v[144:145]
	s_waitcnt vmcnt(0) lgkmcnt(0)
	v_mul_f64 v[28:29], v[22:23], v[32:33]
	scratch_store_b128 off, v[30:33], off offset:1896 ; 16-byte Folded Spill
	v_fma_f64 v[148:149], v[20:21], v[30:31], -v[28:29]
	v_mul_f64 v[20:21], v[20:21], v[32:33]
	s_delay_alu instid0(VALU_DEP_1)
	v_fma_f64 v[150:151], v[22:23], v[30:31], v[20:21]
	global_load_b128 v[30:33], v[24:25], off offset:16
	ds_load_b128 v[20:23], v160 offset:16320
	s_waitcnt vmcnt(0) lgkmcnt(0)
	v_mul_f64 v[28:29], v[22:23], v[32:33]
	scratch_store_b128 off, v[30:33], off offset:1912 ; 16-byte Folded Spill
	v_fma_f64 v[152:153], v[20:21], v[30:31], -v[28:29]
	v_mul_f64 v[20:21], v[20:21], v[32:33]
	s_delay_alu instid0(VALU_DEP_1)
	v_fma_f64 v[154:155], v[22:23], v[30:31], v[20:21]
	global_load_b128 v[30:33], v[24:25], off offset:32
	ds_load_b128 v[20:23], v160 offset:22080
	s_waitcnt vmcnt(0) lgkmcnt(0)
	v_mul_f64 v[28:29], v[22:23], v[32:33]
	scratch_store_b128 off, v[30:33], off offset:1928 ; 16-byte Folded Spill
	v_fma_f64 v[158:159], v[20:21], v[30:31], -v[28:29]
	v_mul_f64 v[20:21], v[20:21], v[32:33]
	v_add_f64 v[32:33], v[68:69], v[76:77]
	s_delay_alu instid0(VALU_DEP_3) | instskip(NEXT) | instid1(VALU_DEP_3)
	v_add_f64 v[224:225], v[148:149], v[158:159]
	v_fma_f64 v[156:157], v[22:23], v[30:31], v[20:21]
	global_load_b128 v[28:31], v[24:25], off offset:48
	ds_load_b128 v[20:23], v160 offset:27840
	s_waitcnt vmcnt(0) lgkmcnt(0)
	v_mul_f64 v[24:25], v[22:23], v[30:31]
	scratch_store_b128 off, v[28:31], off offset:1944 ; 16-byte Folded Spill
	v_fma_f64 v[162:163], v[20:21], v[28:29], -v[24:25]
	v_mul_f64 v[20:21], v[20:21], v[30:31]
	s_delay_alu instid0(VALU_DEP_1)
	v_fma_f64 v[228:229], v[22:23], v[28:29], v[20:21]
	global_load_b128 v[26:29], v[26:27], off offset:288
	ds_load_b128 v[20:23], v160 offset:33600
	s_waitcnt vmcnt(0) lgkmcnt(0)
	v_mul_f64 v[24:25], v[22:23], v[28:29]
	scratch_store_b128 off, v[26:29], off offset:1960 ; 16-byte Folded Spill
	v_fma_f64 v[232:233], v[20:21], v[26:27], -v[24:25]
	v_mul_f64 v[20:21], v[20:21], v[28:29]
	v_add_f64 v[24:25], v[48:49], v[56:57]
	s_delay_alu instid0(VALU_DEP_3) | instskip(NEXT) | instid1(VALU_DEP_3)
	v_add_f64 v[234:235], v[224:225], v[232:233]
	v_fma_f64 v[230:231], v[22:23], v[26:27], v[20:21]
	ds_load_b128 v[20:23], v160
	v_add_f64 v[224:225], v[150:151], v[156:157]
	s_waitcnt lgkmcnt(0)
	v_fma_f64 v[168:169], v[24:25], -0.5, v[20:21]
	v_add_f64 v[24:25], v[50:51], v[58:59]
	v_add_f64 v[20:21], v[20:21], v[48:49]
	s_delay_alu instid0(VALU_DEP_4) | instskip(NEXT) | instid1(VALU_DEP_3)
	v_add_f64 v[236:237], v[224:225], v[230:231]
	v_fma_f64 v[170:171], v[24:25], -0.5, v[22:23]
	s_delay_alu instid0(VALU_DEP_3) | instskip(SKIP_3) | instid1(VALU_DEP_3)
	v_add_f64 v[24:25], v[20:21], v[56:57]
	v_add_f64 v[20:21], v[44:45], v[54:55]
	;; [unrolled: 1-line block ×3, first 2 shown]
	v_add_f64 v[56:57], v[48:49], -v[56:57]
	v_add_f64 v[28:29], v[20:21], v[62:63]
	v_add_f64 v[20:21], v[46:47], v[52:53]
	s_delay_alu instid0(VALU_DEP_4) | instskip(SKIP_1) | instid1(VALU_DEP_3)
	v_add_f64 v[26:27], v[22:23], v[58:59]
	v_add_f64 v[58:59], v[50:51], -v[58:59]
	v_add_f64 v[30:31], v[20:21], v[60:61]
	v_add_f64 v[20:21], v[24:25], v[28:29]
	v_add_f64 v[24:25], v[24:25], -v[28:29]
	s_delay_alu instid0(VALU_DEP_3)
	v_add_f64 v[22:23], v[26:27], v[30:31]
	v_add_f64 v[26:27], v[26:27], -v[30:31]
	ds_load_b128 v[28:31], v160 offset:960
	s_waitcnt lgkmcnt(0)
	v_fma_f64 v[172:173], v[32:33], -0.5, v[28:29]
	v_add_f64 v[32:33], v[70:71], v[78:79]
	v_add_f64 v[28:29], v[28:29], v[68:69]
	v_add_f64 v[68:69], v[68:69], -v[76:77]
	s_delay_alu instid0(VALU_DEP_3) | instskip(SKIP_4) | instid1(VALU_DEP_4)
	v_fma_f64 v[174:175], v[32:33], -0.5, v[30:31]
	v_add_f64 v[32:33], v[64:65], v[74:75]
	v_add_f64 v[30:31], v[30:31], v[70:71]
	v_add_f64 v[28:29], v[28:29], v[76:77]
	v_add_f64 v[70:71], v[70:71], -v[78:79]
	v_add_f64 v[36:37], v[32:33], v[82:83]
	v_add_f64 v[32:33], v[66:67], v[72:73]
	v_add_f64 v[30:31], v[30:31], v[78:79]
	s_delay_alu instid0(VALU_DEP_4) | instskip(NEXT) | instid1(VALU_DEP_3)
	v_fma_f64 v[78:79], v[70:71], s[14:15], v[172:173]
	v_add_f64 v[38:39], v[32:33], v[80:81]
	v_add_f64 v[32:33], v[28:29], v[36:37]
	v_add_f64 v[28:29], v[28:29], -v[36:37]
	s_delay_alu instid0(VALU_DEP_3)
	v_add_f64 v[34:35], v[30:31], v[38:39]
	v_add_f64 v[30:31], v[30:31], -v[38:39]
	ds_load_b128 v[36:39], v160 offset:1920
	s_waitcnt lgkmcnt(0)
	v_fma_f64 v[176:177], v[40:41], -0.5, v[36:37]
	v_add_f64 v[40:41], v[90:91], v[98:99]
	v_add_f64 v[36:37], v[36:37], v[88:89]
	v_add_f64 v[88:89], v[88:89], -v[96:97]
	s_delay_alu instid0(VALU_DEP_3) | instskip(NEXT) | instid1(VALU_DEP_3)
	v_fma_f64 v[178:179], v[40:41], -0.5, v[38:39]
	v_add_f64 v[40:41], v[36:37], v[96:97]
	v_add_f64 v[36:37], v[84:85], v[94:95]
	;; [unrolled: 1-line block ×3, first 2 shown]
	v_add_f64 v[90:91], v[90:91], -v[98:99]
	s_delay_alu instid0(VALU_DEP_3) | instskip(SKIP_1) | instid1(VALU_DEP_4)
	v_add_f64 v[128:129], v[36:37], v[102:103]
	v_add_f64 v[36:37], v[86:87], v[92:93]
	;; [unrolled: 1-line block ×3, first 2 shown]
	v_fma_f64 v[98:99], v[88:89], s[12:13], v[178:179]
	v_fma_f64 v[96:97], v[90:91], s[14:15], v[176:177]
	v_fma_f64 v[90:91], v[90:91], s[12:13], v[176:177]
	v_add_f64 v[130:131], v[36:37], v[100:101]
	v_add_f64 v[36:37], v[40:41], v[128:129]
	v_add_f64 v[40:41], v[40:41], -v[128:129]
	s_delay_alu instid0(VALU_DEP_3)
	v_add_f64 v[38:39], v[42:43], v[130:131]
	v_add_f64 v[42:43], v[42:43], -v[130:131]
	ds_load_b128 v[128:131], v160 offset:2880
	s_waitcnt lgkmcnt(0)
	v_fma_f64 v[180:181], v[164:165], -0.5, v[128:129]
	v_add_f64 v[164:165], v[110:111], v[118:119]
	v_add_f64 v[128:129], v[128:129], v[108:109]
	v_add_f64 v[108:109], v[108:109], -v[116:117]
	s_delay_alu instid0(VALU_DEP_3) | instskip(NEXT) | instid1(VALU_DEP_3)
	v_fma_f64 v[182:183], v[164:165], -0.5, v[130:131]
	v_add_f64 v[164:165], v[128:129], v[116:117]
	v_add_f64 v[128:129], v[104:105], v[114:115]
	;; [unrolled: 1-line block ×3, first 2 shown]
	v_add_f64 v[116:117], v[138:139], -v[146:147]
	s_delay_alu instid0(VALU_DEP_3) | instskip(SKIP_1) | instid1(VALU_DEP_4)
	v_add_f64 v[184:185], v[128:129], v[122:123]
	v_add_f64 v[128:129], v[106:107], v[112:113]
	v_add_f64 v[166:167], v[130:131], v[118:119]
	s_delay_alu instid0(VALU_DEP_3) | instskip(NEXT) | instid1(VALU_DEP_3)
	v_add_f64 v[246:247], v[164:165], -v[184:185]
	v_add_f64 v[186:187], v[128:129], v[120:121]
	v_add_f64 v[128:129], v[164:165], v[184:185]
	;; [unrolled: 1-line block ×3, first 2 shown]
	s_delay_alu instid0(VALU_DEP_3) | instskip(SKIP_1) | instid1(VALU_DEP_3)
	v_add_f64 v[130:131], v[166:167], v[186:187]
	v_add_f64 v[248:249], v[166:167], -v[186:187]
	v_fma_f64 v[184:185], v[164:165], -0.5, v[220:221]
	v_add_f64 v[164:165], v[134:135], v[142:143]
	v_add_f64 v[166:167], v[222:223], v[134:135]
	s_delay_alu instid0(VALU_DEP_2) | instskip(SKIP_4) | instid1(VALU_DEP_2)
	v_fma_f64 v[186:187], v[164:165], -0.5, v[222:223]
	v_add_f64 v[164:165], v[220:221], v[132:133]
	ds_load_b128 v[220:223], v160 offset:4800
	v_add_f64 v[166:167], v[166:167], v[142:143]
	v_add_f64 v[164:165], v[164:165], v[140:141]
	;; [unrolled: 1-line block ×3, first 2 shown]
	v_add_f64 v[166:167], v[166:167], -v[190:191]
	v_add_f64 v[190:191], v[154:155], v[228:229]
	s_delay_alu instid0(VALU_DEP_4) | instskip(SKIP_3) | instid1(VALU_DEP_4)
	v_add_f64 v[250:251], v[164:165], v[188:189]
	v_add_f64 v[164:165], v[164:165], -v[188:189]
	v_add_f64 v[188:189], v[152:153], v[162:163]
	s_waitcnt lgkmcnt(0)
	v_fma_f64 v[190:191], v[190:191], -0.5, v[222:223]
	v_add_f64 v[222:223], v[222:223], v[154:155]
	s_delay_alu instid0(VALU_DEP_3) | instskip(SKIP_1) | instid1(VALU_DEP_3)
	v_fma_f64 v[188:189], v[188:189], -0.5, v[220:221]
	v_add_f64 v[220:221], v[220:221], v[152:153]
	v_add_f64 v[222:223], v[222:223], v[228:229]
	s_delay_alu instid0(VALU_DEP_2) | instskip(NEXT) | instid1(VALU_DEP_2)
	v_add_f64 v[220:221], v[220:221], v[162:163]
	v_add_f64 v[194:195], v[222:223], v[236:237]
	v_add_f64 v[222:223], v[222:223], -v[236:237]
	v_fma_f64 v[236:237], v[56:57], s[12:13], v[170:171]
	s_delay_alu instid0(VALU_DEP_4)
	v_add_f64 v[192:193], v[220:221], v[234:235]
	v_add_f64 v[220:221], v[220:221], -v[234:235]
	v_add_f64 v[234:235], v[54:55], v[62:63]
	v_add_f64 v[54:55], v[54:55], -v[62:63]
	;; [unrolled: 2-line block ×3, first 2 shown]
	s_delay_alu instid0(VALU_DEP_4) | instskip(SKIP_1) | instid1(VALU_DEP_4)
	v_fma_f64 v[60:61], v[234:235], -0.5, v[44:45]
	v_fma_f64 v[234:235], v[58:59], s[14:15], v[168:169]
	v_fma_f64 v[62:63], v[62:63], -0.5, v[46:47]
	v_fma_f64 v[58:59], v[58:59], s[12:13], v[168:169]
	s_delay_alu instid0(VALU_DEP_4) | instskip(SKIP_1) | instid1(VALU_DEP_4)
	v_fma_f64 v[46:47], v[52:53], s[14:15], v[60:61]
	v_fma_f64 v[52:53], v[52:53], s[12:13], v[60:61]
	;; [unrolled: 1-line block ×5, first 2 shown]
	s_delay_alu instid0(VALU_DEP_4) | instskip(NEXT) | instid1(VALU_DEP_4)
	v_mul_f64 v[56:57], v[52:53], -0.5
	v_mul_f64 v[48:49], v[44:45], s[14:15]
	s_delay_alu instid0(VALU_DEP_2) | instskip(SKIP_1) | instid1(VALU_DEP_3)
	v_fma_f64 v[56:57], v[54:55], s[14:15], v[56:57]
	v_mul_f64 v[54:55], v[54:55], -0.5
	v_fma_f64 v[48:49], v[46:47], 0.5, v[48:49]
	v_mul_f64 v[46:47], v[46:47], s[12:13]
	s_delay_alu instid0(VALU_DEP_3) | instskip(SKIP_2) | instid1(VALU_DEP_4)
	v_fma_f64 v[62:63], v[52:53], s[12:13], v[54:55]
	v_add_f64 v[52:53], v[58:59], v[56:57]
	v_add_f64 v[56:57], v[58:59], -v[56:57]
	v_fma_f64 v[50:51], v[44:45], 0.5, v[46:47]
	v_add_f64 v[44:45], v[234:235], v[48:49]
	v_add_f64 v[48:49], v[234:235], -v[48:49]
	v_add_f64 v[54:55], v[60:61], v[62:63]
	v_add_f64 v[58:59], v[60:61], -v[62:63]
	v_add_f64 v[62:63], v[72:73], v[80:81]
	v_add_f64 v[60:61], v[74:75], v[82:83]
	v_add_f64 v[74:75], v[74:75], -v[82:83]
	v_add_f64 v[72:73], v[72:73], -v[80:81]
	v_fma_f64 v[80:81], v[68:69], s[12:13], v[174:175]
	v_add_f64 v[46:47], v[236:237], v[50:51]
	v_add_f64 v[50:51], v[236:237], -v[50:51]
	v_fma_f64 v[82:83], v[62:63], -0.5, v[66:67]
	v_fma_f64 v[76:77], v[60:61], -0.5, v[64:65]
	s_delay_alu instid0(VALU_DEP_2) | instskip(NEXT) | instid1(VALU_DEP_2)
	v_fma_f64 v[60:61], v[74:75], s[12:13], v[82:83]
	v_fma_f64 v[62:63], v[72:73], s[14:15], v[76:77]
	;; [unrolled: 1-line block ×4, first 2 shown]
	s_delay_alu instid0(VALU_DEP_4) | instskip(NEXT) | instid1(VALU_DEP_3)
	v_mul_f64 v[64:65], v[60:61], s[14:15]
	v_mul_f64 v[70:71], v[72:73], -0.5
	s_delay_alu instid0(VALU_DEP_2) | instskip(SKIP_1) | instid1(VALU_DEP_1)
	v_fma_f64 v[64:65], v[62:63], 0.5, v[64:65]
	v_mul_f64 v[62:63], v[62:63], s[12:13]
	v_fma_f64 v[66:67], v[60:61], 0.5, v[62:63]
	s_delay_alu instid0(VALU_DEP_3)
	v_add_f64 v[60:61], v[78:79], v[64:65]
	v_add_f64 v[64:65], v[78:79], -v[64:65]
	v_fma_f64 v[78:79], v[68:69], s[14:15], v[174:175]
	v_fma_f64 v[68:69], v[74:75], s[14:15], v[82:83]
	v_add_f64 v[62:63], v[80:81], v[66:67]
	v_add_f64 v[66:67], v[80:81], -v[66:67]
	s_delay_alu instid0(VALU_DEP_3) | instskip(SKIP_1) | instid1(VALU_DEP_1)
	v_fma_f64 v[74:75], v[68:69], s[14:15], v[70:71]
	v_mul_f64 v[68:69], v[68:69], -0.5
	v_fma_f64 v[80:81], v[72:73], s[12:13], v[68:69]
	s_delay_alu instid0(VALU_DEP_3)
	v_add_f64 v[68:69], v[76:77], v[74:75]
	v_add_f64 v[72:73], v[76:77], -v[74:75]
	v_add_f64 v[76:77], v[94:95], v[102:103]
	v_add_f64 v[94:95], v[94:95], -v[102:103]
	;; [unrolled: 2-line block ×4, first 2 shown]
	v_fma_f64 v[84:85], v[76:77], -0.5, v[84:85]
	v_add_f64 v[100:101], v[114:115], -v[122:123]
	s_delay_alu instid0(VALU_DEP_4) | instskip(NEXT) | instid1(VALU_DEP_3)
	v_fma_f64 v[86:87], v[78:79], -0.5, v[86:87]
	v_fma_f64 v[78:79], v[92:93], s[14:15], v[84:85]
	v_fma_f64 v[84:85], v[92:93], s[12:13], v[84:85]
	;; [unrolled: 1-line block ×3, first 2 shown]
	s_delay_alu instid0(VALU_DEP_4) | instskip(SKIP_1) | instid1(VALU_DEP_4)
	v_fma_f64 v[76:77], v[94:95], s[12:13], v[86:87]
	v_fma_f64 v[86:87], v[94:95], s[14:15], v[86:87]
	v_mul_f64 v[88:89], v[84:85], -0.5
	s_delay_alu instid0(VALU_DEP_3) | instskip(NEXT) | instid1(VALU_DEP_2)
	v_mul_f64 v[80:81], v[76:77], s[14:15]
	v_fma_f64 v[88:89], v[86:87], s[14:15], v[88:89]
	v_mul_f64 v[86:87], v[86:87], -0.5
	s_delay_alu instid0(VALU_DEP_3) | instskip(SKIP_1) | instid1(VALU_DEP_3)
	v_fma_f64 v[80:81], v[78:79], 0.5, v[80:81]
	v_mul_f64 v[78:79], v[78:79], s[12:13]
	v_fma_f64 v[94:95], v[84:85], s[12:13], v[86:87]
	v_add_f64 v[84:85], v[90:91], v[88:89]
	v_add_f64 v[88:89], v[90:91], -v[88:89]
	s_delay_alu instid0(VALU_DEP_4)
	v_fma_f64 v[82:83], v[76:77], 0.5, v[78:79]
	v_add_f64 v[76:77], v[96:97], v[80:81]
	v_add_f64 v[80:81], v[96:97], -v[80:81]
	v_add_f64 v[86:87], v[92:93], v[94:95]
	v_add_f64 v[90:91], v[92:93], -v[94:95]
	v_add_f64 v[92:93], v[114:115], v[122:123]
	v_add_f64 v[94:95], v[112:113], v[120:121]
	v_fma_f64 v[114:115], v[108:109], s[12:13], v[182:183]
	v_fma_f64 v[108:109], v[108:109], s[14:15], v[182:183]
	v_add_f64 v[122:123], v[132:133], -v[140:141]
	v_add_f64 v[78:79], v[98:99], v[82:83]
	v_add_f64 v[82:83], v[98:99], -v[82:83]
	v_fma_f64 v[104:105], v[92:93], -0.5, v[104:105]
	v_fma_f64 v[102:103], v[94:95], -0.5, v[106:107]
	v_add_f64 v[106:107], v[110:111], -v[118:119]
	v_add_f64 v[110:111], v[112:113], -v[120:121]
	;; [unrolled: 1-line block ×3, first 2 shown]
	v_fma_f64 v[134:135], v[122:123], s[12:13], v[186:187]
	v_fma_f64 v[122:123], v[122:123], s[14:15], v[186:187]
	;; [unrolled: 1-line block ×10, first 2 shown]
	v_mul_f64 v[96:97], v[92:93], s[14:15]
	v_mul_f64 v[102:103], v[104:105], -0.5
	s_delay_alu instid0(VALU_DEP_2) | instskip(SKIP_1) | instid1(VALU_DEP_3)
	v_fma_f64 v[96:97], v[94:95], 0.5, v[96:97]
	v_mul_f64 v[94:95], v[94:95], s[12:13]
	v_fma_f64 v[110:111], v[100:101], s[14:15], v[102:103]
	v_mul_f64 v[100:101], v[100:101], -0.5
	s_delay_alu instid0(VALU_DEP_3) | instskip(SKIP_2) | instid1(VALU_DEP_4)
	v_fma_f64 v[98:99], v[92:93], 0.5, v[94:95]
	v_add_f64 v[92:93], v[112:113], v[96:97]
	v_add_f64 v[96:97], v[112:113], -v[96:97]
	v_fma_f64 v[112:113], v[104:105], s[12:13], v[100:101]
	v_add_f64 v[100:101], v[106:107], v[110:111]
	v_add_f64 v[104:105], v[106:107], -v[110:111]
	v_add_f64 v[110:111], v[136:137], v[144:145]
	v_add_f64 v[94:95], v[114:115], v[98:99]
	v_add_f64 v[98:99], v[114:115], -v[98:99]
	v_add_f64 v[102:103], v[108:109], v[112:113]
	v_add_f64 v[106:107], v[108:109], -v[112:113]
	v_add_f64 v[108:109], v[138:139], v[146:147]
	v_fma_f64 v[118:119], v[110:111], -0.5, v[126:127]
	v_add_f64 v[126:127], v[136:137], -v[144:145]
	v_add_f64 v[138:139], v[156:157], -v[230:231]
	;; [unrolled: 1-line block ×3, first 2 shown]
	v_fma_f64 v[124:125], v[108:109], -0.5, v[124:125]
	v_fma_f64 v[108:109], v[116:117], s[12:13], v[118:119]
	v_fma_f64 v[116:117], v[116:117], s[14:15], v[118:119]
	s_delay_alu instid0(VALU_DEP_4) | instskip(SKIP_4) | instid1(VALU_DEP_2)
	v_fma_f64 v[146:147], v[136:137], s[12:13], v[190:191]
	v_fma_f64 v[136:137], v[136:137], s[14:15], v[190:191]
	;; [unrolled: 1-line block ×4, first 2 shown]
	v_mul_f64 v[112:113], v[108:109], s[14:15]
	v_mul_f64 v[118:119], v[124:125], -0.5
	s_delay_alu instid0(VALU_DEP_2) | instskip(SKIP_1) | instid1(VALU_DEP_3)
	v_fma_f64 v[112:113], v[110:111], 0.5, v[112:113]
	v_mul_f64 v[110:111], v[110:111], s[12:13]
	v_fma_f64 v[126:127], v[116:117], s[14:15], v[118:119]
	v_mul_f64 v[116:117], v[116:117], -0.5
	s_delay_alu instid0(VALU_DEP_3)
	v_fma_f64 v[114:115], v[108:109], 0.5, v[110:111]
	v_add_f64 v[108:109], v[132:133], v[112:113]
	v_add_f64 v[112:113], v[132:133], -v[112:113]
	v_add_f64 v[132:133], v[156:157], v[230:231]
	v_fma_f64 v[124:125], v[124:125], s[12:13], v[116:117]
	v_add_f64 v[116:117], v[120:121], v[126:127]
	v_add_f64 v[120:121], v[120:121], -v[126:127]
	v_add_f64 v[126:127], v[158:159], -v[232:233]
	v_fma_f64 v[132:133], v[132:133], -0.5, v[150:151]
	v_add_f64 v[110:111], v[134:135], v[114:115]
	v_add_f64 v[114:115], v[134:135], -v[114:115]
	v_add_f64 v[134:135], v[154:155], -v[228:229]
	v_add_f64 v[118:119], v[122:123], v[124:125]
	v_add_f64 v[122:123], v[122:123], -v[124:125]
	v_add_f64 v[124:125], v[158:159], v[232:233]
	ds_store_b128 v160, v[32:35] offset:960
	ds_store_b128 v160, v[36:39] offset:1920
	;; [unrolled: 1-line block ×8, first 2 shown]
	ds_store_b128 v160, v[20:23]
	ds_store_b128 v160, v[24:27] offset:17280
	ds_store_b128 v160, v[52:55] offset:11520
	;; [unrolled: 1-line block ×21, first 2 shown]
	v_fma_f64 v[140:141], v[126:127], s[12:13], v[132:133]
	v_fma_f64 v[126:127], v[126:127], s[14:15], v[132:133]
	v_lshlrev_b32_e32 v30, 4, v226
	scratch_store_b128 off, v[192:195], off offset:1976 ; 16-byte Folded Spill
	v_add_co_u32 v36, s0, s2, v30
	s_delay_alu instid0(VALU_DEP_1) | instskip(NEXT) | instid1(VALU_DEP_2)
	v_add_co_ci_u32_e64 v37, null, s3, 0, s0
	v_add_co_u32 v34, s0, 0x1000, v36
	s_delay_alu instid0(VALU_DEP_1) | instskip(SKIP_1) | instid1(VALU_DEP_1)
	v_add_co_ci_u32_e64 v35, s0, 0, v37, s0
	v_add_co_u32 v32, s0, 0x2000, v36
	v_add_co_ci_u32_e64 v33, s0, 0, v37, s0
	v_fma_f64 v[124:125], v[124:125], -0.5, v[148:149]
	v_mul_f64 v[144:145], v[140:141], s[14:15]
	s_delay_alu instid0(VALU_DEP_2) | instskip(SKIP_1) | instid1(VALU_DEP_2)
	v_fma_f64 v[142:143], v[138:139], s[14:15], v[124:125]
	v_fma_f64 v[124:125], v[138:139], s[12:13], v[124:125]
	v_fma_f64 v[144:145], v[142:143], 0.5, v[144:145]
	s_delay_alu instid0(VALU_DEP_2) | instskip(SKIP_1) | instid1(VALU_DEP_2)
	v_mul_f64 v[132:133], v[124:125], -0.5
	v_mul_f64 v[142:143], v[142:143], s[12:13]
	v_fma_f64 v[132:133], v[126:127], s[14:15], v[132:133]
	v_mul_f64 v[126:127], v[126:127], -0.5
	s_delay_alu instid0(VALU_DEP_3) | instskip(SKIP_2) | instid1(VALU_DEP_4)
	v_fma_f64 v[140:141], v[140:141], 0.5, v[142:143]
	v_fma_f64 v[142:143], v[134:135], s[14:15], v[188:189]
	v_fma_f64 v[134:135], v[134:135], s[12:13], v[188:189]
	;; [unrolled: 1-line block ×3, first 2 shown]
	s_delay_alu instid0(VALU_DEP_4) | instskip(NEXT) | instid1(VALU_DEP_4)
	v_add_f64 v[230:231], v[146:147], v[140:141]
	v_add_f64 v[228:229], v[142:143], v[144:145]
	s_delay_alu instid0(VALU_DEP_4)
	v_add_f64 v[232:233], v[134:135], v[132:133]
	v_add_f64 v[236:237], v[142:143], -v[144:145]
	v_add_f64 v[238:239], v[146:147], -v[140:141]
	;; [unrolled: 1-line block ×3, first 2 shown]
	v_add_f64 v[234:235], v[136:137], v[124:125]
	v_add_f64 v[242:243], v[136:137], -v[124:125]
	ds_store_b128 v160, v[192:195] offset:4800
	ds_store_b128 v160, v[220:223] offset:22080
	;; [unrolled: 1-line block ×6, first 2 shown]
	s_waitcnt lgkmcnt(0)
	s_waitcnt_vscnt null, 0x0
	s_barrier
	buffer_gl0_inv
	global_load_b128 v[20:23], v30, s[2:3]
	ds_load_b128 v[24:27], v160
	ds_load_b128 v[188:191], v160 offset:33024
	ds_load_b128 v[96:99], v160 offset:4416
	;; [unrolled: 1-line block ×23, first 2 shown]
	global_load_b128 v[162:165], v[32:33], off offset:640
	ds_load_b128 v[168:171], v160 offset:15744
	s_waitcnt vmcnt(1) lgkmcnt(24)
	v_mul_f64 v[28:29], v[26:27], v[22:23]
	v_mul_f64 v[22:23], v[24:25], v[22:23]
	s_delay_alu instid0(VALU_DEP_2) | instskip(NEXT) | instid1(VALU_DEP_2)
	v_fma_f64 v[38:39], v[24:25], v[20:21], -v[28:29]
	v_fma_f64 v[40:41], v[26:27], v[20:21], v[22:23]
	global_load_b128 v[20:23], v30, s[2:3] offset:3456
	ds_load_b128 v[24:27], v160 offset:3456
	s_waitcnt vmcnt(0) lgkmcnt(0)
	v_mul_f64 v[28:29], v[26:27], v[22:23]
	v_mul_f64 v[22:23], v[24:25], v[22:23]
	s_delay_alu instid0(VALU_DEP_2) | instskip(NEXT) | instid1(VALU_DEP_2)
	v_fma_f64 v[42:43], v[24:25], v[20:21], -v[28:29]
	v_fma_f64 v[44:45], v[26:27], v[20:21], v[22:23]
	global_load_b128 v[20:23], v[34:35], off offset:2816
	ds_load_b128 v[24:27], v160 offset:6912
	s_waitcnt vmcnt(0) lgkmcnt(0)
	v_mul_f64 v[28:29], v[26:27], v[22:23]
	v_mul_f64 v[22:23], v[24:25], v[22:23]
	s_delay_alu instid0(VALU_DEP_2) | instskip(NEXT) | instid1(VALU_DEP_2)
	v_fma_f64 v[46:47], v[24:25], v[20:21], -v[28:29]
	v_fma_f64 v[48:49], v[26:27], v[20:21], v[22:23]
	global_load_b128 v[20:23], v[32:33], off offset:2176
	ds_load_b128 v[24:27], v160 offset:10368
	s_waitcnt vmcnt(0) lgkmcnt(0)
	v_mul_f64 v[28:29], v[26:27], v[22:23]
	v_mul_f64 v[22:23], v[24:25], v[22:23]
	s_delay_alu instid0(VALU_DEP_2) | instskip(SKIP_1) | instid1(VALU_DEP_1)
	v_fma_f64 v[50:51], v[24:25], v[20:21], -v[28:29]
	v_add_co_u32 v28, s0, 0x3000, v36
	v_add_co_ci_u32_e64 v29, s0, 0, v37, s0
	s_delay_alu instid0(VALU_DEP_4)
	v_fma_f64 v[52:53], v[26:27], v[20:21], v[22:23]
	ds_load_b128 v[24:27], v160 offset:13824
	global_load_b128 v[20:23], v[28:29], off offset:1536
	s_waitcnt vmcnt(0) lgkmcnt(0)
	v_mul_f64 v[54:55], v[26:27], v[22:23]
	v_mul_f64 v[22:23], v[24:25], v[22:23]
	s_delay_alu instid0(VALU_DEP_2) | instskip(SKIP_1) | instid1(VALU_DEP_1)
	v_fma_f64 v[54:55], v[24:25], v[20:21], -v[54:55]
	v_add_co_u32 v24, s0, 0x4000, v36
	v_add_co_ci_u32_e64 v25, s0, 0, v37, s0
	s_delay_alu instid0(VALU_DEP_4) | instskip(SKIP_4) | instid1(VALU_DEP_2)
	v_fma_f64 v[56:57], v[26:27], v[20:21], v[22:23]
	global_load_b128 v[20:23], v[24:25], off offset:896
	s_waitcnt vmcnt(0)
	v_mul_f64 v[26:27], v[60:61], v[22:23]
	v_mul_f64 v[22:23], v[58:59], v[22:23]
	v_fma_f64 v[58:59], v[58:59], v[20:21], -v[26:27]
	s_delay_alu instid0(VALU_DEP_2) | instskip(SKIP_1) | instid1(VALU_DEP_1)
	v_fma_f64 v[60:61], v[60:61], v[20:21], v[22:23]
	v_add_co_u32 v22, s0, 0x5000, v36
	v_add_co_ci_u32_e64 v23, s0, 0, v37, s0
	global_load_b128 v[62:65], v[22:23], off offset:256
	s_waitcnt vmcnt(0)
	v_mul_f64 v[20:21], v[68:69], v[64:65]
	v_mul_f64 v[26:27], v[66:67], v[64:65]
	s_delay_alu instid0(VALU_DEP_2) | instskip(NEXT) | instid1(VALU_DEP_2)
	v_fma_f64 v[64:65], v[66:67], v[62:63], -v[20:21]
	v_fma_f64 v[66:67], v[68:69], v[62:63], v[26:27]
	global_load_b128 v[68:71], v[22:23], off offset:3712
	s_waitcnt vmcnt(0)
	v_mul_f64 v[20:21], v[74:75], v[70:71]
	v_mul_f64 v[26:27], v[72:73], v[70:71]
	s_delay_alu instid0(VALU_DEP_2)
	v_fma_f64 v[70:71], v[72:73], v[68:69], -v[20:21]
	scratch_load_b32 v20, off, off offset:644 ; 4-byte Folded Reload
	v_fma_f64 v[72:73], v[74:75], v[68:69], v[26:27]
	s_waitcnt vmcnt(0)
	global_load_b128 v[74:77], v20, s[2:3]
	s_waitcnt vmcnt(0)
	v_mul_f64 v[20:21], v[80:81], v[76:77]
	v_mul_f64 v[26:27], v[78:79], v[76:77]
	s_delay_alu instid0(VALU_DEP_2) | instskip(SKIP_1) | instid1(VALU_DEP_1)
	v_fma_f64 v[76:77], v[78:79], v[74:75], -v[20:21]
	v_add_co_u32 v20, s0, 0x7000, v36
	v_add_co_ci_u32_e64 v21, s0, 0, v37, s0
	s_delay_alu instid0(VALU_DEP_4) | instskip(SKIP_4) | instid1(VALU_DEP_2)
	v_fma_f64 v[78:79], v[80:81], v[74:75], v[26:27]
	global_load_b128 v[80:83], v[20:21], off offset:2432
	s_waitcnt vmcnt(0)
	v_mul_f64 v[26:27], v[86:87], v[82:83]
	v_mul_f64 v[62:63], v[84:85], v[82:83]
	v_fma_f64 v[82:83], v[84:85], v[80:81], -v[26:27]
	s_delay_alu instid0(VALU_DEP_2) | instskip(SKIP_4) | instid1(VALU_DEP_2)
	v_fma_f64 v[84:85], v[86:87], v[80:81], v[62:63]
	global_load_b128 v[86:89], v30, s[2:3] offset:960
	s_waitcnt vmcnt(0)
	v_mul_f64 v[26:27], v[92:93], v[88:89]
	v_mul_f64 v[62:63], v[90:91], v[88:89]
	v_fma_f64 v[88:89], v[90:91], v[86:87], -v[26:27]
	s_delay_alu instid0(VALU_DEP_2) | instskip(SKIP_4) | instid1(VALU_DEP_2)
	v_fma_f64 v[90:91], v[92:93], v[86:87], v[62:63]
	global_load_b128 v[92:95], v[34:35], off offset:320
	s_waitcnt vmcnt(0)
	v_mul_f64 v[26:27], v[98:99], v[94:95]
	v_mul_f64 v[62:63], v[96:97], v[94:95]
	v_fma_f64 v[94:95], v[96:97], v[92:93], -v[26:27]
	s_delay_alu instid0(VALU_DEP_2) | instskip(SKIP_4) | instid1(VALU_DEP_2)
	v_fma_f64 v[96:97], v[98:99], v[92:93], v[62:63]
	global_load_b128 v[98:101], v[34:35], off offset:3776
	;; [unrolled: 7-line block ×6, first 2 shown]
	s_waitcnt vmcnt(0)
	v_mul_f64 v[26:27], v[128:129], v[124:125]
	v_mul_f64 v[62:63], v[126:127], v[124:125]
	v_fma_f64 v[124:125], v[126:127], v[122:123], -v[26:27]
	v_add_co_u32 v26, s0, 0x6000, v36
	s_delay_alu instid0(VALU_DEP_1) | instskip(NEXT) | instid1(VALU_DEP_4)
	v_add_co_ci_u32_e64 v27, s0, 0, v37, s0
	v_fma_f64 v[126:127], v[128:129], v[122:123], v[62:63]
	global_load_b128 v[128:131], v[26:27], off offset:576
	s_waitcnt vmcnt(0)
	v_mul_f64 v[62:63], v[134:135], v[130:131]
	v_mul_f64 v[68:69], v[132:133], v[130:131]
	s_delay_alu instid0(VALU_DEP_2) | instskip(NEXT) | instid1(VALU_DEP_2)
	v_fma_f64 v[130:131], v[132:133], v[128:129], -v[62:63]
	v_fma_f64 v[132:133], v[134:135], v[128:129], v[68:69]
	global_load_b128 v[134:137], v[26:27], off offset:4032
	s_waitcnt vmcnt(0)
	v_mul_f64 v[62:63], v[140:141], v[136:137]
	v_mul_f64 v[68:69], v[138:139], v[136:137]
	s_delay_alu instid0(VALU_DEP_2) | instskip(NEXT) | instid1(VALU_DEP_2)
	v_fma_f64 v[136:137], v[138:139], v[134:135], -v[62:63]
	;; [unrolled: 7-line block ×3, first 2 shown]
	v_fma_f64 v[144:145], v[146:147], v[140:141], v[68:69]
	global_load_b128 v[146:149], v30, s[2:3] offset:1920
	s_waitcnt vmcnt(0)
	v_mul_f64 v[30:31], v[152:153], v[148:149]
	v_mul_f64 v[62:63], v[150:151], v[148:149]
	s_delay_alu instid0(VALU_DEP_2) | instskip(NEXT) | instid1(VALU_DEP_2)
	v_fma_f64 v[148:149], v[150:151], v[146:147], -v[30:31]
	v_fma_f64 v[150:151], v[152:153], v[146:147], v[62:63]
	global_load_b128 v[152:155], v[34:35], off offset:1280
	s_waitcnt vmcnt(0)
	v_mul_f64 v[30:31], v[158:159], v[154:155]
	v_mul_f64 v[62:63], v[156:157], v[154:155]
	s_delay_alu instid0(VALU_DEP_2) | instskip(SKIP_1) | instid1(VALU_DEP_3)
	v_fma_f64 v[154:155], v[156:157], v[152:153], -v[30:31]
	v_mul_f64 v[30:31], v[247:248], v[164:165]
	v_fma_f64 v[156:157], v[158:159], v[152:153], v[62:63]
	v_mul_f64 v[62:63], v[245:246], v[164:165]
	s_delay_alu instid0(VALU_DEP_3)
	v_fma_f64 v[164:165], v[245:246], v[162:163], -v[30:31]
	scratch_load_b32 v30, off, off offset:636 ; 4-byte Folded Reload
	v_fma_f64 v[166:167], v[247:248], v[162:163], v[62:63]
	ds_load_b128 v[248:251], v160 offset:12288
	s_waitcnt vmcnt(0)
	global_load_b128 v[244:247], v30, s[2:3]
	s_waitcnt vmcnt(0) lgkmcnt(0)
	v_mul_f64 v[30:31], v[250:251], v[246:247]
	v_mul_f64 v[62:63], v[248:249], v[246:247]
	s_delay_alu instid0(VALU_DEP_2) | instskip(NEXT) | instid1(VALU_DEP_2)
	v_fma_f64 v[246:247], v[248:249], v[244:245], -v[30:31]
	v_fma_f64 v[248:249], v[250:251], v[244:245], v[62:63]
	global_load_b128 v[250:253], v[28:29], off offset:3456
	s_waitcnt vmcnt(0)
	v_mul_f64 v[30:31], v[170:171], v[252:253]
	v_mul_f64 v[62:63], v[168:169], v[252:253]
	s_delay_alu instid0(VALU_DEP_2) | instskip(NEXT) | instid1(VALU_DEP_2)
	v_fma_f64 v[168:169], v[168:169], v[250:251], -v[30:31]
	v_fma_f64 v[170:171], v[170:171], v[250:251], v[62:63]
	global_load_b128 v[250:253], v[24:25], off offset:2816
	s_waitcnt vmcnt(0)
	;; [unrolled: 7-line block ×5, first 2 shown]
	v_mul_f64 v[30:31], v[186:187], v[252:253]
	v_mul_f64 v[62:63], v[184:185], v[252:253]
	s_delay_alu instid0(VALU_DEP_2) | instskip(SKIP_1) | instid1(VALU_DEP_1)
	v_fma_f64 v[184:185], v[184:185], v[250:251], -v[30:31]
	v_add_co_u32 v30, s0, 0x8000, v36
	v_add_co_ci_u32_e64 v31, s0, 0, v37, s0
	s_delay_alu instid0(VALU_DEP_4) | instskip(SKIP_4) | instid1(VALU_DEP_2)
	v_fma_f64 v[186:187], v[186:187], v[250:251], v[62:63]
	global_load_b128 v[250:253], v[30:31], off offset:256
	s_waitcnt vmcnt(0)
	v_mul_f64 v[62:63], v[190:191], v[252:253]
	v_mul_f64 v[68:69], v[188:189], v[252:253]
	v_fma_f64 v[188:189], v[188:189], v[250:251], -v[62:63]
	s_delay_alu instid0(VALU_DEP_2)
	v_fma_f64 v[190:191], v[190:191], v[250:251], v[68:69]
	ds_store_b128 v160, v[42:45] offset:3456
	ds_store_b128 v160, v[94:97] offset:4416
	;; [unrolled: 1-line block ×28, first 2 shown]
	ds_store_b128 v160, v[38:41]
	ds_store_b128 v160, v[188:191] offset:33024
	s_and_saveexec_b32 s0, vcc_lo
	s_cbranch_execz .LBB0_9
; %bb.8:
	s_clause 0x9
	global_load_b128 v[36:39], v[36:37], off offset:2880
	global_load_b128 v[40:43], v[34:35], off offset:2240
	;; [unrolled: 1-line block ×10, first 2 shown]
	ds_load_b128 v[64:67], v160 offset:2880
	ds_load_b128 v[68:71], v160 offset:6336
	;; [unrolled: 1-line block ×10, first 2 shown]
	s_waitcnt vmcnt(9) lgkmcnt(9)
	v_mul_f64 v[20:21], v[66:67], v[38:39]
	v_mul_f64 v[30:31], v[64:65], v[38:39]
	s_waitcnt vmcnt(8) lgkmcnt(8)
	v_mul_f64 v[38:39], v[70:71], v[42:43]
	v_mul_f64 v[42:43], v[68:69], v[42:43]
	;; [unrolled: 3-line block ×8, first 2 shown]
	v_fma_f64 v[34:35], v[64:65], v[36:37], -v[20:21]
	v_fma_f64 v[36:37], v[66:67], v[36:37], v[30:31]
	v_mul_f64 v[64:65], v[94:95], v[28:29]
	v_mul_f64 v[66:67], v[92:93], v[28:29]
	v_fma_f64 v[28:29], v[68:69], v[40:41], -v[38:39]
	s_waitcnt vmcnt(0) lgkmcnt(0)
	v_mul_f64 v[68:69], v[102:103], v[62:63]
	v_mul_f64 v[62:63], v[100:101], v[62:63]
	v_fma_f64 v[30:31], v[70:71], v[40:41], v[42:43]
	v_fma_f64 v[38:39], v[72:73], v[32:33], -v[104:105]
	v_fma_f64 v[40:41], v[74:75], v[32:33], v[106:107]
	v_fma_f64 v[42:43], v[76:77], v[44:45], -v[108:109]
	;; [unrolled: 2-line block ×8, first 2 shown]
	v_fma_f64 v[60:61], v[102:103], v[60:61], v[62:63]
	ds_store_b128 v160, v[28:31] offset:6336
	ds_store_b128 v160, v[38:41] offset:9792
	;; [unrolled: 1-line block ×10, first 2 shown]
.LBB0_9:
	s_or_b32 exec_lo, exec_lo, s0
	s_waitcnt lgkmcnt(0)
	s_barrier
	buffer_gl0_inv
	ds_load_b128 v[48:51], v160 offset:3456
	ds_load_b128 v[52:55], v160 offset:4416
	;; [unrolled: 1-line block ×28, first 2 shown]
	ds_load_b128 v[72:75], v160
	ds_load_b128 v[24:27], v160 offset:33024
	s_and_saveexec_b32 s0, vcc_lo
	s_cbranch_execz .LBB0_11
; %bb.10:
	ds_load_b128 v[228:231], v160 offset:6336
	ds_load_b128 v[232:235], v160 offset:9792
	;; [unrolled: 1-line block ×6, first 2 shown]
	s_waitcnt lgkmcnt(0)
	scratch_store_b128 off, v[128:131], off ; 16-byte Folded Spill
	ds_load_b128 v[128:131], v160 offset:27072
	s_waitcnt lgkmcnt(0)
	scratch_store_b128 off, v[128:131], off offset:32 ; 16-byte Folded Spill
	ds_load_b128 v[128:131], v160 offset:30528
	s_waitcnt lgkmcnt(0)
	scratch_store_b128 off, v[128:131], off offset:16 ; 16-byte Folded Spill
	;; [unrolled: 3-line block ×4, first 2 shown]
.LBB0_11:
	s_or_b32 exec_lo, exec_lo, s0
	s_waitcnt lgkmcnt(1)
	v_add_f64 v[128:129], v[72:73], v[112:113]
	v_add_f64 v[130:131], v[74:75], v[114:115]
	v_add_f64 v[134:135], v[124:125], -v[112:113]
	v_add_f64 v[162:163], v[126:127], -v[118:119]
	v_add_f64 v[142:143], v[126:127], v[118:119]
	v_add_f64 v[140:141], v[124:125], v[116:117]
	v_add_f64 v[132:133], v[112:113], -v[124:125]
	v_add_f64 v[146:147], v[114:115], v[122:123]
	v_add_f64 v[136:137], v[120:121], -v[116:117]
	v_add_f64 v[138:139], v[122:123], -v[118:119]
	v_add_f64 v[144:145], v[112:113], v[120:121]
	v_add_f64 v[112:113], v[112:113], -v[120:121]
	v_add_f64 v[148:149], v[108:109], v[100:101]
	v_add_f64 v[166:167], v[110:111], v[102:103]
	v_add_f64 v[168:169], v[98:99], -v[110:111]
	v_add_f64 v[170:171], v[110:111], -v[98:99]
	v_add_f64 v[172:173], v[96:97], v[104:105]
	v_add_f64 v[174:175], v[104:105], -v[100:101]
	v_add_f64 v[176:177], v[106:107], -v[102:103]
	v_add_f64 v[178:179], v[92:93], v[84:85]
	v_add_f64 v[150:151], v[94:95], -v[86:87]
	v_add_f64 v[180:181], v[80:81], -v[92:93]
	v_add_f64 v[182:183], v[92:93], -v[80:81]
	v_add_f64 v[184:185], v[94:95], v[86:87]
	v_add_f64 v[152:153], v[92:93], -v[84:85]
	v_add_f64 v[186:187], v[82:83], -v[94:95]
	;; [unrolled: 1-line block ×14, first 2 shown]
	v_add_f64 v[128:129], v[128:129], v[124:125]
	v_add_f64 v[130:131], v[130:131], v[126:127]
	scratch_store_b64 off, v[134:135], off offset:636 ; 8-byte Folded Spill
	v_add_f64 v[134:135], v[114:115], -v[126:127]
	v_add_f64 v[126:127], v[126:127], -v[114:115]
	;; [unrolled: 1-line block ×6, first 2 shown]
	s_mov_b32 s14, 0x134454ff
	s_mov_b32 s15, 0xbfee6f0e
	;; [unrolled: 1-line block ×4, first 2 shown]
	v_fma_f64 v[166:167], v[166:167], -0.5, v[50:51]
	v_add_f64 v[210:211], v[66:67], -v[62:63]
	v_add_f64 v[212:213], v[62:63], -v[66:67]
	v_fma_f64 v[148:149], v[148:149], -0.5, v[48:49]
	v_fma_f64 v[172:173], v[172:173], -0.5, v[48:49]
	s_mov_b32 s16, 0x4755a5e
	s_mov_b32 s17, 0xbfe2cf23
	;; [unrolled: 1-line block ×4, first 2 shown]
	v_fma_f64 v[216:217], v[146:147], -0.5, v[74:75]
	s_mov_b32 s0, 0x372fe950
	s_mov_b32 s1, 0x3fd3c6ef
	;; [unrolled: 1-line block ×4, first 2 shown]
	v_fma_f64 v[214:215], v[142:143], -0.5, v[74:75]
	v_fma_f64 v[142:143], v[184:185], -0.5, v[58:59]
	s_mov_b32 s19, 0xbfd3c6ef
	s_mov_b32 s18, s0
	;; [unrolled: 1-line block ×4, first 2 shown]
	scratch_store_b64 off, v[126:127], off offset:644 ; 8-byte Folded Spill
	v_add_f64 v[126:127], v[114:115], -v[122:123]
	v_add_f64 v[114:115], v[128:129], v[116:117]
	v_add_f64 v[116:117], v[116:117], -v[120:121]
	v_add_f64 v[128:129], v[130:131], v[118:119]
	scratch_store_b64 off, v[116:117], off offset:1992 ; 8-byte Folded Spill
	v_add_f64 v[116:117], v[118:119], -v[122:123]
	v_add_f64 v[118:119], v[128:129], v[122:123]
	v_add_f64 v[122:123], v[96:97], -v[108:109]
	scratch_store_b64 off, v[116:117], off offset:2000 ; 8-byte Folded Spill
	v_add_f64 v[116:117], v[114:115], v[120:121]
	v_add_f64 v[114:115], v[48:49], v[96:97]
	v_add_f64 v[120:121], v[108:109], -v[96:97]
	v_add_f64 v[96:97], v[96:97], -v[104:105]
	s_delay_alu instid0(VALU_DEP_3) | instskip(SKIP_2) | instid1(VALU_DEP_3)
	v_add_f64 v[128:129], v[114:115], v[108:109]
	v_add_f64 v[114:115], v[50:51], v[98:99]
	v_add_f64 v[108:109], v[108:109], -v[100:101]
	v_add_f64 v[128:129], v[128:129], v[100:101]
	s_delay_alu instid0(VALU_DEP_3)
	v_add_f64 v[130:131], v[114:115], v[110:111]
	v_add_f64 v[114:115], v[110:111], -v[102:103]
	v_add_f64 v[110:111], v[98:99], -v[106:107]
	v_add_f64 v[98:99], v[98:99], v[106:107]
	v_add_f64 v[100:101], v[100:101], -v[104:105]
	v_add_f64 v[104:105], v[128:129], v[104:105]
	v_add_f64 v[130:131], v[130:131], v[102:103]
	v_add_f64 v[102:103], v[102:103], -v[106:107]
	v_add_f64 v[128:129], v[56:57], v[80:81]
	v_fma_f64 v[98:99], v[98:99], -0.5, v[50:51]
	s_delay_alu instid0(VALU_DEP_4) | instskip(SKIP_1) | instid1(VALU_DEP_4)
	v_add_f64 v[106:107], v[130:131], v[106:107]
	v_add_f64 v[130:131], v[58:59], v[82:83]
	;; [unrolled: 1-line block ×5, first 2 shown]
	s_delay_alu instid0(VALU_DEP_4) | instskip(NEXT) | instid1(VALU_DEP_4)
	v_add_f64 v[130:131], v[130:131], v[94:95]
	v_add_f64 v[82:83], v[128:129], v[84:85]
	v_add_f64 v[128:129], v[76:77], -v[60:61]
	s_delay_alu instid0(VALU_DEP_4)
	v_fma_f64 v[184:185], v[80:81], -0.5, v[58:59]
	v_add_f64 v[80:81], v[132:133], v[136:137]
	v_add_f64 v[58:59], v[118:119], -v[106:107]
	v_add_f64 v[132:133], v[34:35], -v[46:47]
	v_add_f64 v[94:95], v[130:131], v[86:87]
	v_add_f64 v[86:87], v[52:53], v[68:69]
	v_add_f64 v[82:83], v[82:83], v[88:89]
	v_add_f64 v[88:89], v[54:55], v[70:71]
	v_add_f64 v[130:131], v[70:71], -v[66:67]
	v_add_f64 v[84:85], v[94:95], v[90:91]
	v_add_f64 v[86:87], v[86:87], v[76:77]
	;; [unrolled: 1-line block ×10, first 2 shown]
	v_fma_f64 v[218:219], v[76:77], -0.5, v[52:53]
	v_fma_f64 v[88:89], v[140:141], -0.5, v[72:73]
	;; [unrolled: 1-line block ×6, first 2 shown]
	v_add_f64 v[56:57], v[116:117], -v[104:105]
	v_add_f64 v[104:105], v[168:169], v[176:177]
	v_add_f64 v[94:95], v[120:121], v[100:101]
	v_add_f64 v[100:101], v[170:171], v[102:103]
	v_add_f64 v[62:63], v[118:119], v[106:107]
	v_add_f64 v[168:169], v[202:203], v[210:211]
	v_add_f64 v[118:119], v[204:205], v[212:213]
	v_add_f64 v[116:117], v[200:201], v[208:209]
	v_add_f64 v[170:171], v[44:45], v[36:37]
	v_add_f64 v[176:177], v[34:35], v[42:43]
	s_waitcnt lgkmcnt(0)
	v_add_f64 v[200:201], v[20:21], -v[24:25]
	v_add_f64 v[202:203], v[26:27], -v[22:23]
	;; [unrolled: 1-line block ×3, first 2 shown]
	v_add_f64 v[64:65], v[70:71], v[64:65]
	v_fma_f64 v[70:71], v[112:113], s[2:3], v[214:215]
	v_add_f64 v[66:67], v[78:79], v[66:67]
	v_fma_f64 v[78:79], v[144:145], -0.5, v[72:73]
	v_fma_f64 v[144:145], v[90:91], -0.5, v[52:53]
	v_add_f64 v[90:91], v[122:123], v[174:175]
	v_add_f64 v[174:175], v[32:33], v[40:41]
	;; [unrolled: 1-line block ×3, first 2 shown]
	v_add_f64 v[52:53], v[82:83], -v[64:65]
	v_fma_f64 v[64:65], v[96:97], s[2:3], v[166:167]
	v_add_f64 v[50:51], v[84:85], v[66:67]
	v_add_f64 v[54:55], v[84:85], -v[66:67]
	v_fma_f64 v[66:67], v[110:111], s[14:15], v[148:149]
	v_add_f64 v[82:83], v[134:135], v[138:139]
	v_fma_f64 v[70:71], v[124:125], s[10:11], v[70:71]
	v_fma_f64 v[64:65], v[108:109], s[10:11], v[64:65]
	s_delay_alu instid0(VALU_DEP_4) | instskip(NEXT) | instid1(VALU_DEP_3)
	v_fma_f64 v[66:67], v[114:115], s[16:17], v[66:67]
	v_fma_f64 v[70:71], v[82:83], s[0:1], v[70:71]
	s_delay_alu instid0(VALU_DEP_3) | instskip(NEXT) | instid1(VALU_DEP_3)
	v_fma_f64 v[64:65], v[104:105], s[0:1], v[64:65]
	v_fma_f64 v[66:67], v[90:91], s[0:1], v[66:67]
	s_delay_alu instid0(VALU_DEP_2) | instskip(NEXT) | instid1(VALU_DEP_1)
	v_mul_f64 v[68:69], v[64:65], s[16:17]
	v_fma_f64 v[68:69], v[66:67], s[12:13], v[68:69]
	v_mul_f64 v[66:67], v[66:67], s[10:11]
	s_delay_alu instid0(VALU_DEP_1) | instskip(SKIP_2) | instid1(VALU_DEP_3)
	v_fma_f64 v[66:67], v[64:65], s[12:13], v[66:67]
	v_fma_f64 v[64:65], v[126:127], s[14:15], v[88:89]
	;; [unrolled: 1-line block ×3, first 2 shown]
	v_add_f64 v[74:75], v[70:71], v[66:67]
	s_delay_alu instid0(VALU_DEP_3) | instskip(SKIP_1) | instid1(VALU_DEP_4)
	v_fma_f64 v[64:65], v[162:163], s[16:17], v[64:65]
	v_add_f64 v[66:67], v[70:71], -v[66:67]
	v_fma_f64 v[88:89], v[162:163], s[10:11], v[88:89]
	s_delay_alu instid0(VALU_DEP_3) | instskip(NEXT) | instid1(VALU_DEP_2)
	v_fma_f64 v[64:65], v[80:81], s[0:1], v[64:65]
	v_fma_f64 v[80:81], v[80:81], s[0:1], v[88:89]
	s_delay_alu instid0(VALU_DEP_2)
	v_add_f64 v[72:73], v[64:65], v[68:69]
	v_add_f64 v[64:65], v[64:65], -v[68:69]
	s_clause 0x1
	scratch_load_b64 v[68:69], off, off offset:636
	scratch_load_b64 v[70:71], off, off offset:1992
	s_waitcnt vmcnt(0)
	v_add_f64 v[76:77], v[68:69], v[70:71]
	s_clause 0x1
	scratch_load_b64 v[68:69], off, off offset:644
	scratch_load_b64 v[70:71], off, off offset:2000
	s_waitcnt vmcnt(0)
	s_waitcnt_vscnt null, 0x0
	s_barrier
	buffer_gl0_inv
	v_add_f64 v[92:93], v[68:69], v[70:71]
	v_fma_f64 v[68:69], v[108:109], s[14:15], v[98:99]
	v_fma_f64 v[70:71], v[114:115], s[2:3], v[172:173]
	s_delay_alu instid0(VALU_DEP_2) | instskip(NEXT) | instid1(VALU_DEP_2)
	v_fma_f64 v[68:69], v[96:97], s[10:11], v[68:69]
	v_fma_f64 v[70:71], v[110:111], s[16:17], v[70:71]
	s_delay_alu instid0(VALU_DEP_2) | instskip(NEXT) | instid1(VALU_DEP_2)
	v_fma_f64 v[68:69], v[100:101], s[0:1], v[68:69]
	v_fma_f64 v[70:71], v[94:95], s[0:1], v[70:71]
	s_delay_alu instid0(VALU_DEP_2) | instskip(SKIP_1) | instid1(VALU_DEP_2)
	v_mul_f64 v[84:85], v[68:69], s[14:15]
	v_mul_f64 v[68:69], v[68:69], s[0:1]
	v_fma_f64 v[102:103], v[70:71], s[0:1], v[84:85]
	s_delay_alu instid0(VALU_DEP_2)
	v_fma_f64 v[70:71], v[70:71], s[2:3], v[68:69]
	v_fma_f64 v[68:69], v[162:163], s[2:3], v[78:79]
	;; [unrolled: 1-line block ×4, first 2 shown]
	v_add_f64 v[162:163], v[186:187], v[194:195]
	v_add_f64 v[186:187], v[30:31], v[22:23]
	v_add_f64 v[194:195], v[254:255], -v[26:27]
	v_fma_f64 v[68:69], v[126:127], s[16:17], v[68:69]
	v_fma_f64 v[78:79], v[126:127], s[10:11], v[78:79]
	;; [unrolled: 1-line block ×3, first 2 shown]
	v_add_f64 v[126:127], v[46:47], -v[34:35]
	s_delay_alu instid0(VALU_DEP_4) | instskip(NEXT) | instid1(VALU_DEP_4)
	v_fma_f64 v[68:69], v[76:77], s[0:1], v[68:69]
	v_fma_f64 v[76:77], v[76:77], s[0:1], v[78:79]
	;; [unrolled: 1-line block ×4, first 2 shown]
	s_delay_alu instid0(VALU_DEP_4) | instskip(SKIP_1) | instid1(VALU_DEP_4)
	v_add_f64 v[84:85], v[68:69], v[102:103]
	v_add_f64 v[68:69], v[68:69], -v[102:103]
	v_fma_f64 v[78:79], v[112:113], s[16:17], v[78:79]
	s_delay_alu instid0(VALU_DEP_4)
	v_add_f64 v[86:87], v[106:107], v[70:71]
	v_add_f64 v[70:71], v[106:107], -v[70:71]
	v_add_f64 v[106:107], v[188:189], v[196:197]
	v_add_f64 v[188:189], v[28:29], -v[20:21]
	v_add_f64 v[196:197], v[252:253], -v[24:25]
	v_fma_f64 v[78:79], v[92:93], s[0:1], v[78:79]
	v_fma_f64 v[92:93], v[108:109], s[2:3], v[98:99]
	v_fma_f64 v[98:99], v[114:115], s[14:15], v[172:173]
	v_add_f64 v[172:173], v[46:47], v[38:39]
	s_delay_alu instid0(VALU_DEP_3) | instskip(NEXT) | instid1(VALU_DEP_3)
	v_fma_f64 v[92:93], v[96:97], s[16:17], v[92:93]
	v_fma_f64 v[98:99], v[110:111], s[10:11], v[98:99]
	;; [unrolled: 1-line block ×3, first 2 shown]
	v_add_f64 v[166:167], v[198:199], v[206:207]
	v_add_f64 v[198:199], v[24:25], -v[20:21]
	v_fma_f64 v[92:93], v[100:101], s[0:1], v[92:93]
	v_fma_f64 v[94:95], v[94:95], s[0:1], v[98:99]
	;; [unrolled: 1-line block ×3, first 2 shown]
	s_delay_alu instid0(VALU_DEP_3) | instskip(SKIP_1) | instid1(VALU_DEP_3)
	v_mul_f64 v[98:99], v[92:93], s[14:15]
	v_mul_f64 v[92:93], v[92:93], s[18:19]
	v_fma_f64 v[96:97], v[104:105], s[0:1], v[96:97]
	v_add_f64 v[104:105], v[182:183], v[192:193]
	v_add_f64 v[182:183], v[252:253], -v[28:29]
	v_add_f64 v[192:193], v[30:31], -v[254:255]
	v_fma_f64 v[98:99], v[94:95], s[18:19], v[98:99]
	v_fma_f64 v[100:101], v[94:95], s[2:3], v[92:93]
	s_delay_alu instid0(VALU_DEP_2) | instskip(NEXT) | instid1(VALU_DEP_2)
	v_add_f64 v[92:93], v[76:77], v[98:99]
	v_add_f64 v[94:95], v[78:79], v[100:101]
	v_add_f64 v[78:79], v[78:79], -v[100:101]
	v_fma_f64 v[100:101], v[110:111], s[2:3], v[148:149]
	v_add_f64 v[76:77], v[76:77], -v[98:99]
	v_fma_f64 v[98:99], v[112:113], s[14:15], v[214:215]
	v_add_f64 v[148:149], v[180:181], v[190:191]
	v_add_f64 v[180:181], v[28:29], v[20:21]
	v_add_f64 v[190:191], v[254:255], -v[30:31]
	v_fma_f64 v[100:101], v[114:115], s[10:11], v[100:101]
	v_fma_f64 v[98:99], v[124:125], s[16:17], v[98:99]
	v_add_f64 v[124:125], v[32:33], -v[44:45]
	s_delay_alu instid0(VALU_DEP_3) | instskip(SKIP_4) | instid1(VALU_DEP_4)
	v_fma_f64 v[88:89], v[90:91], s[0:1], v[100:101]
	v_mul_f64 v[90:91], v[96:97], s[16:17]
	v_mul_f64 v[96:97], v[96:97], s[20:21]
	v_fma_f64 v[82:83], v[82:83], s[0:1], v[98:99]
	v_fma_f64 v[98:99], v[156:157], s[2:3], v[142:143]
	;; [unrolled: 1-line block ×3, first 2 shown]
	s_delay_alu instid0(VALU_DEP_4) | instskip(NEXT) | instid1(VALU_DEP_3)
	v_fma_f64 v[96:97], v[88:89], s[10:11], v[96:97]
	v_fma_f64 v[98:99], v[152:153], s[10:11], v[98:99]
	s_delay_alu instid0(VALU_DEP_3)
	v_add_f64 v[108:109], v[80:81], v[90:91]
	v_add_f64 v[88:89], v[80:81], -v[90:91]
	v_fma_f64 v[80:81], v[164:165], s[2:3], v[146:147]
	v_add_f64 v[110:111], v[82:83], v[96:97]
	v_add_f64 v[90:91], v[82:83], -v[96:97]
	v_fma_f64 v[82:83], v[130:131], s[14:15], v[144:145]
	v_fma_f64 v[98:99], v[162:163], s[0:1], v[98:99]
	ds_store_b128 v227, v[60:63]
	ds_store_b128 v227, v[72:75] offset:16
	ds_store_b128 v227, v[84:87] offset:32
	ds_store_b128 v227, v[92:95] offset:48
	ds_store_b128 v227, v[108:111] offset:64
	ds_store_b128 v227, v[56:59] offset:80
	ds_store_b128 v227, v[64:67] offset:96
	ds_store_b128 v227, v[68:71] offset:112
	ds_store_b128 v227, v[76:79] offset:128
	ds_store_b128 v227, v[88:91] offset:144
	v_fma_f64 v[80:81], v[128:129], s[10:11], v[80:81]
	v_fma_f64 v[82:83], v[158:159], s[16:17], v[82:83]
	s_delay_alu instid0(VALU_DEP_2) | instskip(NEXT) | instid1(VALU_DEP_2)
	v_fma_f64 v[80:81], v[168:169], s[0:1], v[80:81]
	v_fma_f64 v[82:83], v[166:167], s[0:1], v[82:83]
	s_delay_alu instid0(VALU_DEP_2) | instskip(NEXT) | instid1(VALU_DEP_1)
	v_mul_f64 v[96:97], v[80:81], s[16:17]
	v_fma_f64 v[96:97], v[82:83], s[12:13], v[96:97]
	v_mul_f64 v[82:83], v[82:83], s[10:11]
	s_delay_alu instid0(VALU_DEP_1) | instskip(SKIP_1) | instid1(VALU_DEP_2)
	v_fma_f64 v[82:83], v[80:81], s[12:13], v[82:83]
	v_fma_f64 v[80:81], v[154:155], s[14:15], v[140:141]
	v_add_f64 v[102:103], v[98:99], v[82:83]
	s_delay_alu instid0(VALU_DEP_2) | instskip(SKIP_2) | instid1(VALU_DEP_3)
	v_fma_f64 v[80:81], v[150:151], s[16:17], v[80:81]
	v_add_f64 v[82:83], v[98:99], -v[82:83]
	v_fma_f64 v[98:99], v[158:159], s[2:3], v[218:219]
	v_fma_f64 v[80:81], v[148:149], s[0:1], v[80:81]
	s_delay_alu instid0(VALU_DEP_2) | instskip(NEXT) | instid1(VALU_DEP_2)
	v_fma_f64 v[98:99], v[130:131], s[16:17], v[98:99]
	v_add_f64 v[100:101], v[80:81], v[96:97]
	v_add_f64 v[80:81], v[80:81], -v[96:97]
	v_fma_f64 v[96:97], v[128:129], s[14:15], v[224:225]
	s_delay_alu instid0(VALU_DEP_4) | instskip(NEXT) | instid1(VALU_DEP_2)
	v_fma_f64 v[98:99], v[116:117], s[0:1], v[98:99]
	v_fma_f64 v[96:97], v[164:165], s[10:11], v[96:97]
	s_delay_alu instid0(VALU_DEP_1) | instskip(NEXT) | instid1(VALU_DEP_1)
	v_fma_f64 v[96:97], v[118:119], s[0:1], v[96:97]
	v_mul_f64 v[112:113], v[96:97], s[14:15]
	v_mul_f64 v[96:97], v[96:97], s[0:1]
	s_delay_alu instid0(VALU_DEP_2) | instskip(NEXT) | instid1(VALU_DEP_2)
	v_fma_f64 v[120:121], v[98:99], s[0:1], v[112:113]
	v_fma_f64 v[98:99], v[98:99], s[2:3], v[96:97]
	;; [unrolled: 1-line block ×4, first 2 shown]
	s_delay_alu instid0(VALU_DEP_2) | instskip(NEXT) | instid1(VALU_DEP_2)
	v_fma_f64 v[96:97], v[154:155], s[16:17], v[96:97]
	v_fma_f64 v[112:113], v[156:157], s[10:11], v[112:113]
	s_delay_alu instid0(VALU_DEP_2) | instskip(NEXT) | instid1(VALU_DEP_2)
	v_fma_f64 v[96:97], v[104:105], s[0:1], v[96:97]
	v_fma_f64 v[122:123], v[106:107], s[0:1], v[112:113]
	s_delay_alu instid0(VALU_DEP_2) | instskip(SKIP_2) | instid1(VALU_DEP_4)
	v_add_f64 v[112:113], v[96:97], v[120:121]
	v_add_f64 v[96:97], v[96:97], -v[120:121]
	v_fma_f64 v[120:121], v[150:151], s[14:15], v[178:179]
	v_add_f64 v[114:115], v[122:123], v[98:99]
	v_add_f64 v[98:99], v[122:123], -v[98:99]
	s_delay_alu instid0(VALU_DEP_3) | instskip(NEXT) | instid1(VALU_DEP_1)
	v_fma_f64 v[120:121], v[154:155], s[10:11], v[120:121]
	v_fma_f64 v[104:105], v[104:105], s[0:1], v[120:121]
	;; [unrolled: 1-line block ×3, first 2 shown]
	v_add_f64 v[184:185], v[28:29], -v[252:253]
	s_delay_alu instid0(VALU_DEP_2) | instskip(NEXT) | instid1(VALU_DEP_1)
	v_fma_f64 v[120:121], v[156:157], s[16:17], v[120:121]
	v_fma_f64 v[106:107], v[106:107], s[0:1], v[120:121]
	;; [unrolled: 1-line block ×3, first 2 shown]
	s_delay_alu instid0(VALU_DEP_1) | instskip(NEXT) | instid1(VALU_DEP_1)
	v_fma_f64 v[120:121], v[164:165], s[16:17], v[120:121]
	v_fma_f64 v[118:119], v[118:119], s[0:1], v[120:121]
	;; [unrolled: 1-line block ×3, first 2 shown]
	s_delay_alu instid0(VALU_DEP_1) | instskip(NEXT) | instid1(VALU_DEP_1)
	v_fma_f64 v[120:121], v[130:131], s[10:11], v[120:121]
	v_fma_f64 v[116:117], v[116:117], s[0:1], v[120:121]
	s_delay_alu instid0(VALU_DEP_4) | instskip(SKIP_1) | instid1(VALU_DEP_2)
	v_mul_f64 v[120:121], v[118:119], s[14:15]
	v_mul_f64 v[118:119], v[118:119], s[18:19]
	v_fma_f64 v[120:121], v[116:117], s[18:19], v[120:121]
	s_delay_alu instid0(VALU_DEP_2) | instskip(NEXT) | instid1(VALU_DEP_2)
	v_fma_f64 v[122:123], v[116:117], s[2:3], v[118:119]
	v_add_f64 v[116:117], v[104:105], v[120:121]
	v_add_f64 v[104:105], v[104:105], -v[120:121]
	v_add_f64 v[120:121], v[248:249], v[32:33]
	s_delay_alu instid0(VALU_DEP_4)
	v_add_f64 v[118:119], v[106:107], v[122:123]
	v_add_f64 v[106:107], v[106:107], -v[122:123]
	v_add_f64 v[122:123], v[44:45], -v[32:33]
	;; [unrolled: 1-line block ×3, first 2 shown]
	v_add_f64 v[134:135], v[120:121], v[44:45]
	v_add_f64 v[120:121], v[250:251], v[34:35]
	v_add_f64 v[44:45], v[44:45], -v[36:37]
	s_delay_alu instid0(VALU_DEP_3) | instskip(NEXT) | instid1(VALU_DEP_3)
	v_add_f64 v[138:139], v[134:135], v[36:37]
	v_add_f64 v[136:137], v[120:121], v[46:47]
	v_add_f64 v[120:121], v[46:47], -v[38:39]
	v_add_f64 v[46:47], v[34:35], -v[42:43]
	;; [unrolled: 1-line block ×5, first 2 shown]
	v_add_f64 v[138:139], v[138:139], v[40:41]
	v_add_f64 v[178:179], v[136:137], v[38:39]
	v_add_f64 v[136:137], v[42:43], -v[38:39]
	v_add_f64 v[38:39], v[244:245], v[252:253]
	v_add_f64 v[126:127], v[126:127], v[36:37]
	s_delay_alu instid0(VALU_DEP_4) | instskip(NEXT) | instid1(VALU_DEP_3)
	v_add_f64 v[40:41], v[178:179], v[42:43]
	v_add_f64 v[42:43], v[38:39], v[28:29]
	v_add_f64 v[38:39], v[246:247], v[254:255]
	v_add_f64 v[28:29], v[252:253], v[24:25]
	s_delay_alu instid0(VALU_DEP_3) | instskip(NEXT) | instid1(VALU_DEP_3)
	v_add_f64 v[42:43], v[42:43], v[20:21]
	v_add_f64 v[178:179], v[38:39], v[30:31]
	v_fma_f64 v[20:21], v[164:165], s[14:15], v[146:147]
	v_add_f64 v[38:39], v[30:31], -v[22:23]
	v_add_f64 v[30:31], v[254:255], v[26:27]
	v_add_f64 v[164:165], v[190:191], v[202:203]
	v_fma_f64 v[146:147], v[172:173], -0.5, v[250:251]
	v_add_f64 v[42:43], v[42:43], v[24:25]
	v_add_f64 v[178:179], v[178:179], v[22:23]
	v_fma_f64 v[24:25], v[156:157], s[14:15], v[142:143]
	v_fma_f64 v[20:21], v[128:129], s[16:17], v[20:21]
	;; [unrolled: 1-line block ×3, first 2 shown]
	v_fma_f64 v[154:155], v[30:31], -0.5, v[246:247]
	v_add_f64 v[156:157], v[124:125], v[134:135]
	v_fma_f64 v[142:143], v[176:177], -0.5, v[250:251]
	v_add_f64 v[178:179], v[178:179], v[26:27]
	v_fma_f64 v[26:27], v[130:131], s[2:3], v[144:145]
	v_fma_f64 v[24:25], v[152:153], s[16:17], v[24:25]
	;; [unrolled: 1-line block ×4, first 2 shown]
	v_fma_f64 v[150:151], v[180:181], -0.5, v[244:245]
	v_fma_f64 v[152:153], v[28:29], -0.5, v[244:245]
	v_add_f64 v[28:29], v[138:139], v[42:43]
	v_fma_f64 v[144:145], v[170:171], -0.5, v[248:249]
	v_add_f64 v[30:31], v[40:41], v[178:179]
	v_fma_f64 v[26:27], v[158:159], s[10:11], v[26:27]
	v_fma_f64 v[128:129], v[162:163], s[0:1], v[24:25]
	v_add_f64 v[162:163], v[182:183], v[198:199]
	v_fma_f64 v[22:23], v[148:149], s[0:1], v[22:23]
	v_fma_f64 v[148:149], v[186:187], -0.5, v[246:247]
	v_add_f64 v[158:159], v[132:133], v[136:137]
	v_fma_f64 v[36:37], v[38:39], s[2:3], v[152:153]
	v_fma_f64 v[24:25], v[166:167], s[0:1], v[26:27]
	v_mul_f64 v[26:27], v[20:21], s[16:17]
	v_mul_f64 v[20:21], v[20:21], s[20:21]
	v_add_f64 v[166:167], v[192:193], v[204:205]
	v_fma_f64 v[36:37], v[194:195], s[16:17], v[36:37]
	s_delay_alu instid0(VALU_DEP_4) | instskip(NEXT) | instid1(VALU_DEP_4)
	v_fma_f64 v[130:131], v[24:25], s[20:21], v[26:27]
	v_fma_f64 v[140:141], v[24:25], s[10:11], v[20:21]
	s_delay_alu instid0(VALU_DEP_2)
	v_add_f64 v[24:25], v[22:23], v[130:131]
	v_add_f64 v[20:21], v[22:23], -v[130:131]
	v_add_f64 v[130:131], v[40:41], -v[178:179]
	v_fma_f64 v[40:41], v[196:197], s[2:3], v[148:149]
	v_add_f64 v[26:27], v[128:129], v[140:141]
	v_add_f64 v[22:23], v[128:129], -v[140:141]
	v_add_f64 v[128:129], v[138:139], -v[42:43]
	v_fma_f64 v[42:43], v[194:195], s[14:15], v[150:151]
	v_add_f64 v[138:139], v[184:185], v[200:201]
	v_fma_f64 v[140:141], v[174:175], -0.5, v[248:249]
	v_fma_f64 v[40:41], v[188:189], s[10:11], v[40:41]
	s_delay_alu instid0(VALU_DEP_4) | instskip(NEXT) | instid1(VALU_DEP_4)
	v_fma_f64 v[42:43], v[38:39], s[16:17], v[42:43]
	v_fma_f64 v[36:37], v[138:139], s[0:1], v[36:37]
	s_delay_alu instid0(VALU_DEP_3) | instskip(NEXT) | instid1(VALU_DEP_3)
	v_fma_f64 v[40:41], v[164:165], s[0:1], v[40:41]
	v_fma_f64 v[42:43], v[162:163], s[0:1], v[42:43]
	s_delay_alu instid0(VALU_DEP_2) | instskip(NEXT) | instid1(VALU_DEP_1)
	v_mul_f64 v[124:125], v[40:41], s[16:17]
	v_fma_f64 v[124:125], v[42:43], s[12:13], v[124:125]
	v_mul_f64 v[42:43], v[42:43], s[10:11]
	s_delay_alu instid0(VALU_DEP_1) | instskip(SKIP_2) | instid1(VALU_DEP_2)
	v_fma_f64 v[134:135], v[40:41], s[12:13], v[42:43]
	v_fma_f64 v[42:43], v[32:33], s[2:3], v[146:147]
	;; [unrolled: 1-line block ×4, first 2 shown]
	s_delay_alu instid0(VALU_DEP_2) | instskip(NEXT) | instid1(VALU_DEP_2)
	v_fma_f64 v[40:41], v[120:121], s[16:17], v[40:41]
	v_fma_f64 v[136:137], v[158:159], s[0:1], v[42:43]
	s_delay_alu instid0(VALU_DEP_2) | instskip(NEXT) | instid1(VALU_DEP_2)
	v_fma_f64 v[132:133], v[156:157], s[0:1], v[40:41]
	v_add_f64 v[42:43], v[136:137], v[134:135]
	v_add_f64 v[134:135], v[136:137], -v[134:135]
	v_add_f64 v[136:137], v[122:123], v[34:35]
	v_fma_f64 v[34:35], v[188:189], s[14:15], v[154:155]
	v_add_f64 v[40:41], v[132:133], v[124:125]
	v_add_f64 v[132:133], v[132:133], -v[124:125]
	s_delay_alu instid0(VALU_DEP_3) | instskip(NEXT) | instid1(VALU_DEP_1)
	v_fma_f64 v[34:35], v[196:197], s[10:11], v[34:35]
	v_fma_f64 v[34:35], v[166:167], s[0:1], v[34:35]
	s_delay_alu instid0(VALU_DEP_1) | instskip(SKIP_1) | instid1(VALU_DEP_2)
	v_mul_f64 v[122:123], v[34:35], s[14:15]
	v_mul_f64 v[34:35], v[34:35], s[0:1]
	v_fma_f64 v[122:123], v[36:37], s[0:1], v[122:123]
	s_delay_alu instid0(VALU_DEP_2) | instskip(SKIP_3) | instid1(VALU_DEP_3)
	v_fma_f64 v[124:125], v[36:37], s[2:3], v[34:35]
	v_fma_f64 v[34:35], v[120:121], s[2:3], v[140:141]
	;; [unrolled: 1-line block ×5, first 2 shown]
	s_delay_alu instid0(VALU_DEP_3) | instskip(NEXT) | instid1(VALU_DEP_3)
	v_fma_f64 v[140:141], v[46:47], s[10:11], v[140:141]
	v_fma_f64 v[36:37], v[32:33], s[10:11], v[36:37]
	;; [unrolled: 1-line block ×11, first 2 shown]
	v_add_f64 v[34:35], v[168:169], v[122:123]
	v_add_f64 v[122:123], v[168:169], -v[122:123]
	v_fma_f64 v[136:137], v[32:33], s[16:17], v[136:137]
	v_fma_f64 v[32:33], v[32:33], s[14:15], v[146:147]
	;; [unrolled: 1-line block ×5, first 2 shown]
	v_add_f64 v[36:37], v[170:171], v[124:125]
	v_add_f64 v[124:125], v[170:171], -v[124:125]
	v_fma_f64 v[126:127], v[126:127], s[0:1], v[136:137]
	v_fma_f64 v[136:137], v[188:189], s[2:3], v[154:155]
	;; [unrolled: 1-line block ×4, first 2 shown]
	s_delay_alu instid0(VALU_DEP_3) | instskip(NEXT) | instid1(VALU_DEP_2)
	v_fma_f64 v[136:137], v[196:197], s[16:17], v[136:137]
	v_fma_f64 v[32:33], v[158:159], s[0:1], v[32:33]
	s_delay_alu instid0(VALU_DEP_2) | instskip(NEXT) | instid1(VALU_DEP_1)
	v_fma_f64 v[136:137], v[166:167], s[0:1], v[136:137]
	v_mul_f64 v[142:143], v[136:137], s[14:15]
	v_mul_f64 v[136:137], v[136:137], s[18:19]
	s_delay_alu instid0(VALU_DEP_2) | instskip(NEXT) | instid1(VALU_DEP_2)
	v_fma_f64 v[142:143], v[138:139], s[18:19], v[142:143]
	v_fma_f64 v[152:153], v[138:139], s[2:3], v[136:137]
	s_delay_alu instid0(VALU_DEP_2) | instskip(NEXT) | instid1(VALU_DEP_2)
	v_add_f64 v[136:137], v[140:141], v[142:143]
	v_add_f64 v[138:139], v[126:127], v[152:153]
	v_add_f64 v[140:141], v[140:141], -v[142:143]
	v_add_f64 v[142:143], v[126:127], -v[152:153]
	v_fma_f64 v[126:127], v[196:197], s[14:15], v[148:149]
	s_delay_alu instid0(VALU_DEP_1) | instskip(NEXT) | instid1(VALU_DEP_1)
	v_fma_f64 v[126:127], v[188:189], s[16:17], v[126:127]
	v_fma_f64 v[44:45], v[164:165], s[0:1], v[126:127]
	s_delay_alu instid0(VALU_DEP_1) | instskip(SKIP_1) | instid1(VALU_DEP_2)
	v_mul_f64 v[46:47], v[44:45], s[16:17]
	v_mul_f64 v[44:45], v[44:45], s[20:21]
	v_fma_f64 v[126:127], v[38:39], s[20:21], v[46:47]
	s_delay_alu instid0(VALU_DEP_2) | instskip(NEXT) | instid1(VALU_DEP_2)
	v_fma_f64 v[38:39], v[38:39], s[10:11], v[44:45]
	v_add_f64 v[44:45], v[120:121], v[126:127]
	s_delay_alu instid0(VALU_DEP_2)
	v_add_f64 v[46:47], v[32:33], v[38:39]
	v_add_f64 v[146:147], v[32:33], -v[38:39]
	scratch_load_b32 v32, off, off offset:652 ; 4-byte Folded Reload
	v_add_f64 v[144:145], v[120:121], -v[126:127]
	s_waitcnt vmcnt(0)
	ds_store_b128 v32, v[48:51]
	ds_store_b128 v32, v[100:103] offset:16
	ds_store_b128 v32, v[112:115] offset:32
	;; [unrolled: 1-line block ×9, first 2 shown]
	ds_store_b128 v161, v[28:31]
	ds_store_b128 v161, v[40:43] offset:16
	ds_store_b128 v161, v[34:37] offset:32
	;; [unrolled: 1-line block ×9, first 2 shown]
	s_and_saveexec_b32 s22, vcc_lo
	s_cbranch_execz .LBB0_13
; %bb.12:
	s_clause 0x4
	scratch_load_b128 v[102:105], off, off offset:32
	scratch_load_b128 v[106:109], off, off offset:48
	scratch_load_b128 v[94:97], off, off
	scratch_load_b128 v[98:101], off, off offset:16
	scratch_load_b128 v[82:85], off, off offset:1976
	v_add_f64 v[36:37], v[222:223], -v[242:243]
	v_add_f64 v[42:43], v[242:243], -v[222:223]
	;; [unrolled: 1-line block ×4, first 2 shown]
	v_add_f64 v[72:73], v[230:231], v[222:223]
	v_add_f64 v[80:81], v[228:229], v[220:221]
	v_add_f64 v[86:87], v[236:237], -v[232:233]
	s_waitcnt vmcnt(4)
	v_add_f64 v[20:21], v[242:243], v[104:105]
	s_waitcnt vmcnt(3)
	v_add_f64 v[22:23], v[222:223], v[108:109]
	v_add_f64 v[24:25], v[240:241], v[102:103]
	v_add_f64 v[26:27], v[220:221], -v[106:107]
	v_add_f64 v[28:29], v[220:221], v[106:107]
	v_add_f64 v[30:31], v[240:241], -v[102:103]
	v_add_f64 v[32:33], v[222:223], -v[108:109]
	;; [unrolled: 1-line block ×3, first 2 shown]
	s_waitcnt vmcnt(1)
	v_add_f64 v[40:41], v[234:235], v[100:101]
	v_add_f64 v[44:45], v[104:105], -v[108:109]
	v_add_f64 v[46:47], v[236:237], v[94:95]
	v_add_f64 v[48:49], v[242:243], -v[104:105]
	;; [unrolled: 2-line block ×3, first 2 shown]
	v_add_f64 v[68:69], v[102:103], -v[106:107]
	s_waitcnt vmcnt(0)
	v_add_f64 v[70:71], v[84:85], v[234:235]
	v_add_f64 v[78:79], v[82:83], v[232:233]
	v_add_f64 v[64:65], v[236:237], -v[94:95]
	v_add_f64 v[76:77], v[238:239], -v[96:97]
	v_add_f64 v[34:35], v[238:239], v[96:97]
	v_add_f64 v[62:63], v[232:233], -v[98:99]
	v_add_f64 v[74:75], v[234:235], -v[100:101]
	;; [unrolled: 1-line block ×3, first 2 shown]
	v_fma_f64 v[20:21], v[20:21], -0.5, v[230:231]
	v_fma_f64 v[22:23], v[22:23], -0.5, v[230:231]
	;; [unrolled: 1-line block ×4, first 2 shown]
	v_add_f64 v[36:37], v[36:37], v[38:39]
	v_fma_f64 v[40:41], v[40:41], -0.5, v[84:85]
	v_add_f64 v[38:39], v[42:43], v[44:45]
	v_fma_f64 v[42:43], v[46:47], -0.5, v[82:83]
	v_add_f64 v[66:67], v[66:67], v[68:69]
	v_add_f64 v[68:69], v[70:71], v[238:239]
	;; [unrolled: 1-line block ×5, first 2 shown]
	v_fma_f64 v[34:35], v[34:35], -0.5, v[84:85]
	v_add_f64 v[84:85], v[98:99], -v[94:95]
	v_fma_f64 v[50:51], v[26:27], s[14:15], v[20:21]
	v_fma_f64 v[52:53], v[30:31], s[2:3], v[22:23]
	;; [unrolled: 1-line block ×17, first 2 shown]
	v_fma_f64 v[26:27], v[54:55], -0.5, v[82:83]
	v_add_f64 v[52:53], v[56:57], v[58:59]
	v_fma_f64 v[54:55], v[48:49], s[16:17], v[60:61]
	v_fma_f64 v[20:21], v[30:31], s[10:11], v[20:21]
	v_add_f64 v[30:31], v[234:235], -v[238:239]
	v_add_f64 v[56:57], v[100:101], -v[96:97]
	;; [unrolled: 1-line block ×4, first 2 shown]
	v_fma_f64 v[24:25], v[48:49], s[10:11], v[24:25]
	v_fma_f64 v[44:45], v[32:33], s[10:11], v[44:45]
	;; [unrolled: 1-line block ×5, first 2 shown]
	v_add_f64 v[82:83], v[232:233], -v[236:237]
	v_fma_f64 v[34:35], v[64:65], s[10:11], v[34:35]
	v_fma_f64 v[32:33], v[36:37], s[0:1], v[46:47]
	;; [unrolled: 1-line block ×8, first 2 shown]
	v_add_f64 v[54:55], v[86:87], v[88:89]
	v_add_f64 v[30:31], v[30:31], v[56:57]
	;; [unrolled: 1-line block ×6, first 2 shown]
	v_fma_f64 v[72:73], v[62:63], s[16:17], v[90:91]
	v_fma_f64 v[24:25], v[52:53], s[0:1], v[24:25]
	;; [unrolled: 1-line block ×3, first 2 shown]
	v_add_f64 v[58:59], v[70:71], v[104:105]
	v_add_f64 v[50:51], v[82:83], v[84:85]
	v_fma_f64 v[70:71], v[64:65], s[16:17], v[80:81]
	v_fma_f64 v[44:45], v[66:67], s[0:1], v[44:45]
	v_fma_f64 v[28:29], v[66:67], s[0:1], v[28:29]
	v_mul_f64 v[52:53], v[32:33], s[20:21]
	v_mul_f64 v[32:33], v[32:33], s[16:17]
	;; [unrolled: 1-line block ×3, first 2 shown]
	v_fma_f64 v[38:39], v[74:75], s[10:11], v[38:39]
	v_fma_f64 v[26:27], v[74:75], s[16:17], v[26:27]
	v_mul_f64 v[74:75], v[48:49], s[10:11]
	v_mul_f64 v[76:77], v[20:21], s[16:17]
	;; [unrolled: 1-line block ×5, first 2 shown]
	v_add_f64 v[56:57], v[56:57], v[100:101]
	v_add_f64 v[60:61], v[60:61], v[98:99]
	;; [unrolled: 1-line block ×3, first 2 shown]
	v_fma_f64 v[72:73], v[36:37], s[0:1], v[72:73]
	v_fma_f64 v[36:37], v[36:37], s[0:1], v[40:41]
	;; [unrolled: 1-line block ×3, first 2 shown]
	v_add_f64 v[58:59], v[58:59], v[108:109]
	v_fma_f64 v[82:83], v[50:51], s[0:1], v[42:43]
	v_fma_f64 v[70:71], v[30:31], s[0:1], v[70:71]
	;; [unrolled: 1-line block ×13, first 2 shown]
	v_add_f64 v[20:21], v[60:61], -v[68:69]
	v_add_f64 v[24:25], v[60:61], v[68:69]
	scratch_load_b32 v60, off, off offset:2008 ; 4-byte Folded Reload
	v_add_f64 v[26:27], v[56:57], v[58:59]
	v_add_f64 v[22:23], v[56:57], -v[58:59]
	v_add_f64 v[30:31], v[70:71], -v[40:41]
	v_add_f64 v[42:43], v[70:71], v[40:41]
	v_add_f64 v[34:35], v[72:73], -v[52:53]
	v_add_f64 v[46:47], v[72:73], v[52:53]
	v_add_f64 v[40:41], v[62:63], v[86:87]
	;; [unrolled: 1-line block ×6, first 2 shown]
	v_add_f64 v[58:59], v[78:79], -v[74:75]
	v_add_f64 v[44:45], v[66:67], v[84:85]
	v_add_f64 v[56:57], v[82:83], -v[76:77]
	v_add_f64 v[38:39], v[36:37], -v[64:65]
	;; [unrolled: 1-line block ×5, first 2 shown]
	s_waitcnt vmcnt(0)
	v_lshlrev_b32_e32 v60, 4, v60
	ds_store_b128 v60, v[24:27]
	ds_store_b128 v60, v[20:23] offset:80
	ds_store_b128 v60, v[52:55] offset:16
	;; [unrolled: 1-line block ×9, first 2 shown]
.LBB0_13:
	s_or_b32 exec_lo, exec_lo, s22
	s_waitcnt lgkmcnt(0)
	s_barrier
	buffer_gl0_inv
	s_clause 0x2
	scratch_load_b128 v[26:29], off, off offset:768
	scratch_load_b128 v[30:33], off, off offset:752
	;; [unrolled: 1-line block ×3, first 2 shown]
	ds_load_b128 v[20:23], v160 offset:5760
	s_mov_b32 s2, 0xe8584caa
	s_mov_b32 s3, 0xbfebb67a
	;; [unrolled: 1-line block ×4, first 2 shown]
	s_mul_i32 s10, s5, 0x1b00
	s_clause 0x2
	scratch_load_b128 v[128:131], off, off offset:1120
	scratch_load_b128 v[44:47], off, off offset:1088
	;; [unrolled: 1-line block ×3, first 2 shown]
	s_waitcnt vmcnt(5) lgkmcnt(0)
	v_mul_f64 v[24:25], v[28:29], v[22:23]
	s_delay_alu instid0(VALU_DEP_1) | instskip(SKIP_1) | instid1(VALU_DEP_1)
	v_fma_f64 v[24:25], v[26:27], v[20:21], v[24:25]
	v_mul_f64 v[20:21], v[28:29], v[20:21]
	v_fma_f64 v[26:27], v[26:27], v[22:23], -v[20:21]
	ds_load_b128 v[20:23], v160 offset:11520
	s_waitcnt vmcnt(4) lgkmcnt(0)
	v_mul_f64 v[28:29], v[32:33], v[22:23]
	s_delay_alu instid0(VALU_DEP_1) | instskip(SKIP_1) | instid1(VALU_DEP_1)
	v_fma_f64 v[28:29], v[30:31], v[20:21], v[28:29]
	v_mul_f64 v[20:21], v[32:33], v[20:21]
	v_fma_f64 v[30:31], v[30:31], v[22:23], -v[20:21]
	ds_load_b128 v[20:23], v160 offset:17280
	s_waitcnt vmcnt(3) lgkmcnt(0)
	v_mul_f64 v[32:33], v[36:37], v[22:23]
	s_delay_alu instid0(VALU_DEP_1) | instskip(SKIP_1) | instid1(VALU_DEP_1)
	v_fma_f64 v[140:141], v[34:35], v[20:21], v[32:33]
	v_mul_f64 v[20:21], v[36:37], v[20:21]
	v_fma_f64 v[142:143], v[34:35], v[22:23], -v[20:21]
	scratch_load_b128 v[34:37], off, off offset:720 ; 16-byte Folded Reload
	ds_load_b128 v[20:23], v160 offset:23040
	s_waitcnt vmcnt(0) lgkmcnt(0)
	v_mul_f64 v[32:33], v[36:37], v[22:23]
	s_delay_alu instid0(VALU_DEP_1) | instskip(SKIP_1) | instid1(VALU_DEP_1)
	v_fma_f64 v[144:145], v[34:35], v[20:21], v[32:33]
	v_mul_f64 v[20:21], v[36:37], v[20:21]
	v_fma_f64 v[146:147], v[34:35], v[22:23], -v[20:21]
	scratch_load_b128 v[34:37], off, off offset:704 ; 16-byte Folded Reload
	ds_load_b128 v[20:23], v160 offset:28800
	s_waitcnt vmcnt(0) lgkmcnt(0)
	v_mul_f64 v[32:33], v[36:37], v[22:23]
	s_delay_alu instid0(VALU_DEP_1) | instskip(SKIP_1) | instid1(VALU_DEP_1)
	v_fma_f64 v[148:149], v[34:35], v[20:21], v[32:33]
	v_mul_f64 v[20:21], v[36:37], v[20:21]
	v_fma_f64 v[150:151], v[34:35], v[22:23], -v[20:21]
	scratch_load_b128 v[34:37], off, off offset:688 ; 16-byte Folded Reload
	ds_load_b128 v[20:23], v160 offset:6720
	s_waitcnt vmcnt(0) lgkmcnt(0)
	v_mul_f64 v[32:33], v[36:37], v[22:23]
	s_delay_alu instid0(VALU_DEP_1) | instskip(SKIP_1) | instid1(VALU_DEP_1)
	v_fma_f64 v[112:113], v[34:35], v[20:21], v[32:33]
	v_mul_f64 v[20:21], v[36:37], v[20:21]
	v_fma_f64 v[114:115], v[34:35], v[22:23], -v[20:21]
	scratch_load_b128 v[34:37], off, off offset:672 ; 16-byte Folded Reload
	ds_load_b128 v[20:23], v160 offset:12480
	s_waitcnt vmcnt(0) lgkmcnt(0)
	v_mul_f64 v[32:33], v[36:37], v[22:23]
	s_delay_alu instid0(VALU_DEP_1) | instskip(SKIP_1) | instid1(VALU_DEP_1)
	v_fma_f64 v[116:117], v[34:35], v[20:21], v[32:33]
	v_mul_f64 v[20:21], v[36:37], v[20:21]
	v_fma_f64 v[118:119], v[34:35], v[22:23], -v[20:21]
	scratch_load_b128 v[34:37], off, off offset:656 ; 16-byte Folded Reload
	ds_load_b128 v[20:23], v160 offset:18240
	s_waitcnt vmcnt(0) lgkmcnt(0)
	v_mul_f64 v[32:33], v[36:37], v[22:23]
	s_delay_alu instid0(VALU_DEP_1) | instskip(SKIP_1) | instid1(VALU_DEP_1)
	v_fma_f64 v[122:123], v[34:35], v[20:21], v[32:33]
	v_mul_f64 v[20:21], v[36:37], v[20:21]
	v_fma_f64 v[120:121], v[34:35], v[22:23], -v[20:21]
	scratch_load_b128 v[34:37], off, off offset:816 ; 16-byte Folded Reload
	ds_load_b128 v[20:23], v160 offset:24000
	s_waitcnt vmcnt(0) lgkmcnt(0)
	v_mul_f64 v[32:33], v[36:37], v[22:23]
	s_delay_alu instid0(VALU_DEP_1) | instskip(SKIP_1) | instid1(VALU_DEP_1)
	v_fma_f64 v[124:125], v[34:35], v[20:21], v[32:33]
	v_mul_f64 v[20:21], v[36:37], v[20:21]
	v_fma_f64 v[126:127], v[34:35], v[22:23], -v[20:21]
	scratch_load_b128 v[34:37], off, off offset:784 ; 16-byte Folded Reload
	ds_load_b128 v[20:23], v160 offset:29760
	s_waitcnt vmcnt(0) lgkmcnt(0)
	v_mul_f64 v[32:33], v[36:37], v[22:23]
	s_delay_alu instid0(VALU_DEP_1) | instskip(SKIP_1) | instid1(VALU_DEP_1)
	v_fma_f64 v[134:135], v[34:35], v[20:21], v[32:33]
	v_mul_f64 v[20:21], v[36:37], v[20:21]
	v_fma_f64 v[132:133], v[34:35], v[22:23], -v[20:21]
	scratch_load_b128 v[34:37], off, off offset:800 ; 16-byte Folded Reload
	ds_load_b128 v[20:23], v160 offset:7680
	s_waitcnt vmcnt(0) lgkmcnt(0)
	v_mul_f64 v[32:33], v[36:37], v[22:23]
	s_delay_alu instid0(VALU_DEP_1) | instskip(SKIP_1) | instid1(VALU_DEP_1)
	v_fma_f64 v[92:93], v[34:35], v[20:21], v[32:33]
	v_mul_f64 v[20:21], v[36:37], v[20:21]
	v_fma_f64 v[94:95], v[34:35], v[22:23], -v[20:21]
	scratch_load_b128 v[34:37], off, off offset:832 ; 16-byte Folded Reload
	ds_load_b128 v[20:23], v160 offset:13440
	s_waitcnt vmcnt(0) lgkmcnt(0)
	v_mul_f64 v[32:33], v[36:37], v[22:23]
	s_delay_alu instid0(VALU_DEP_1) | instskip(SKIP_1) | instid1(VALU_DEP_1)
	v_fma_f64 v[96:97], v[34:35], v[20:21], v[32:33]
	v_mul_f64 v[20:21], v[36:37], v[20:21]
	v_fma_f64 v[98:99], v[34:35], v[22:23], -v[20:21]
	scratch_load_b128 v[34:37], off, off offset:848 ; 16-byte Folded Reload
	ds_load_b128 v[20:23], v160 offset:19200
	s_waitcnt vmcnt(0) lgkmcnt(0)
	v_mul_f64 v[32:33], v[36:37], v[22:23]
	s_delay_alu instid0(VALU_DEP_1) | instskip(SKIP_1) | instid1(VALU_DEP_1)
	v_fma_f64 v[102:103], v[34:35], v[20:21], v[32:33]
	v_mul_f64 v[20:21], v[36:37], v[20:21]
	v_fma_f64 v[100:101], v[34:35], v[22:23], -v[20:21]
	scratch_load_b128 v[34:37], off, off offset:864 ; 16-byte Folded Reload
	ds_load_b128 v[20:23], v160 offset:24960
	s_waitcnt vmcnt(0) lgkmcnt(0)
	v_mul_f64 v[32:33], v[36:37], v[22:23]
	s_delay_alu instid0(VALU_DEP_1) | instskip(SKIP_1) | instid1(VALU_DEP_1)
	v_fma_f64 v[104:105], v[34:35], v[20:21], v[32:33]
	v_mul_f64 v[20:21], v[36:37], v[20:21]
	v_fma_f64 v[106:107], v[34:35], v[22:23], -v[20:21]
	scratch_load_b128 v[34:37], off, off offset:880 ; 16-byte Folded Reload
	ds_load_b128 v[20:23], v160 offset:30720
	s_waitcnt vmcnt(0) lgkmcnt(0)
	v_mul_f64 v[32:33], v[36:37], v[22:23]
	s_delay_alu instid0(VALU_DEP_1) | instskip(SKIP_1) | instid1(VALU_DEP_1)
	v_fma_f64 v[110:111], v[34:35], v[20:21], v[32:33]
	v_mul_f64 v[20:21], v[36:37], v[20:21]
	v_fma_f64 v[108:109], v[34:35], v[22:23], -v[20:21]
	scratch_load_b128 v[34:37], off, off offset:896 ; 16-byte Folded Reload
	ds_load_b128 v[20:23], v160 offset:8640
	s_waitcnt vmcnt(0) lgkmcnt(0)
	v_mul_f64 v[32:33], v[36:37], v[22:23]
	s_delay_alu instid0(VALU_DEP_1) | instskip(SKIP_1) | instid1(VALU_DEP_1)
	v_fma_f64 v[72:73], v[34:35], v[20:21], v[32:33]
	v_mul_f64 v[20:21], v[36:37], v[20:21]
	v_fma_f64 v[74:75], v[34:35], v[22:23], -v[20:21]
	scratch_load_b128 v[34:37], off, off offset:912 ; 16-byte Folded Reload
	ds_load_b128 v[20:23], v160 offset:14400
	s_waitcnt vmcnt(0) lgkmcnt(0)
	v_mul_f64 v[32:33], v[36:37], v[22:23]
	s_delay_alu instid0(VALU_DEP_1) | instskip(SKIP_1) | instid1(VALU_DEP_1)
	v_fma_f64 v[76:77], v[34:35], v[20:21], v[32:33]
	v_mul_f64 v[20:21], v[36:37], v[20:21]
	v_fma_f64 v[78:79], v[34:35], v[22:23], -v[20:21]
	scratch_load_b128 v[34:37], off, off offset:928 ; 16-byte Folded Reload
	ds_load_b128 v[20:23], v160 offset:20160
	s_waitcnt vmcnt(0) lgkmcnt(0)
	v_mul_f64 v[32:33], v[36:37], v[22:23]
	s_delay_alu instid0(VALU_DEP_1) | instskip(SKIP_1) | instid1(VALU_DEP_1)
	v_fma_f64 v[82:83], v[34:35], v[20:21], v[32:33]
	v_mul_f64 v[20:21], v[36:37], v[20:21]
	v_fma_f64 v[80:81], v[34:35], v[22:23], -v[20:21]
	scratch_load_b128 v[34:37], off, off offset:944 ; 16-byte Folded Reload
	ds_load_b128 v[20:23], v160 offset:25920
	s_waitcnt vmcnt(0) lgkmcnt(0)
	v_mul_f64 v[32:33], v[36:37], v[22:23]
	s_delay_alu instid0(VALU_DEP_1) | instskip(SKIP_1) | instid1(VALU_DEP_1)
	v_fma_f64 v[84:85], v[34:35], v[20:21], v[32:33]
	v_mul_f64 v[20:21], v[36:37], v[20:21]
	v_fma_f64 v[86:87], v[34:35], v[22:23], -v[20:21]
	scratch_load_b128 v[34:37], off, off offset:960 ; 16-byte Folded Reload
	ds_load_b128 v[20:23], v160 offset:31680
	s_waitcnt vmcnt(0) lgkmcnt(0)
	v_mul_f64 v[32:33], v[36:37], v[22:23]
	s_delay_alu instid0(VALU_DEP_1) | instskip(SKIP_1) | instid1(VALU_DEP_1)
	v_fma_f64 v[90:91], v[34:35], v[20:21], v[32:33]
	v_mul_f64 v[20:21], v[36:37], v[20:21]
	v_fma_f64 v[88:89], v[34:35], v[22:23], -v[20:21]
	scratch_load_b128 v[34:37], off, off offset:976 ; 16-byte Folded Reload
	ds_load_b128 v[20:23], v160 offset:9600
	s_waitcnt vmcnt(0) lgkmcnt(0)
	v_mul_f64 v[32:33], v[36:37], v[22:23]
	s_delay_alu instid0(VALU_DEP_1) | instskip(SKIP_1) | instid1(VALU_DEP_1)
	v_fma_f64 v[52:53], v[34:35], v[20:21], v[32:33]
	v_mul_f64 v[20:21], v[36:37], v[20:21]
	v_fma_f64 v[56:57], v[34:35], v[22:23], -v[20:21]
	scratch_load_b128 v[34:37], off, off offset:992 ; 16-byte Folded Reload
	ds_load_b128 v[20:23], v160 offset:15360
	s_waitcnt vmcnt(0) lgkmcnt(0)
	v_mul_f64 v[32:33], v[36:37], v[22:23]
	s_delay_alu instid0(VALU_DEP_1) | instskip(SKIP_1) | instid1(VALU_DEP_1)
	v_fma_f64 v[54:55], v[34:35], v[20:21], v[32:33]
	v_mul_f64 v[20:21], v[36:37], v[20:21]
	v_fma_f64 v[58:59], v[34:35], v[22:23], -v[20:21]
	scratch_load_b128 v[34:37], off, off offset:1008 ; 16-byte Folded Reload
	ds_load_b128 v[20:23], v160 offset:21120
	s_waitcnt vmcnt(0) lgkmcnt(0)
	v_mul_f64 v[32:33], v[36:37], v[22:23]
	s_delay_alu instid0(VALU_DEP_1) | instskip(SKIP_1) | instid1(VALU_DEP_1)
	v_fma_f64 v[62:63], v[34:35], v[20:21], v[32:33]
	v_mul_f64 v[20:21], v[36:37], v[20:21]
	v_fma_f64 v[60:61], v[34:35], v[22:23], -v[20:21]
	scratch_load_b128 v[34:37], off, off offset:1024 ; 16-byte Folded Reload
	ds_load_b128 v[20:23], v160 offset:26880
	s_waitcnt vmcnt(0) lgkmcnt(0)
	v_mul_f64 v[32:33], v[36:37], v[22:23]
	s_delay_alu instid0(VALU_DEP_1) | instskip(SKIP_1) | instid1(VALU_DEP_1)
	v_fma_f64 v[64:65], v[34:35], v[20:21], v[32:33]
	v_mul_f64 v[20:21], v[36:37], v[20:21]
	v_fma_f64 v[66:67], v[34:35], v[22:23], -v[20:21]
	scratch_load_b128 v[34:37], off, off offset:1040 ; 16-byte Folded Reload
	ds_load_b128 v[20:23], v160 offset:32640
	s_waitcnt vmcnt(0) lgkmcnt(0)
	v_mul_f64 v[32:33], v[36:37], v[22:23]
	s_delay_alu instid0(VALU_DEP_1) | instskip(SKIP_1) | instid1(VALU_DEP_1)
	v_fma_f64 v[70:71], v[34:35], v[20:21], v[32:33]
	v_mul_f64 v[20:21], v[36:37], v[20:21]
	v_fma_f64 v[68:69], v[34:35], v[22:23], -v[20:21]
	scratch_load_b128 v[34:37], off, off offset:1056 ; 16-byte Folded Reload
	ds_load_b128 v[20:23], v160 offset:10560
	s_waitcnt vmcnt(0) lgkmcnt(0)
	v_mul_f64 v[32:33], v[36:37], v[22:23]
	s_delay_alu instid0(VALU_DEP_1) | instskip(SKIP_1) | instid1(VALU_DEP_1)
	v_fma_f64 v[32:33], v[34:35], v[20:21], v[32:33]
	v_mul_f64 v[20:21], v[36:37], v[20:21]
	v_fma_f64 v[36:37], v[34:35], v[22:23], -v[20:21]
	ds_load_b128 v[20:23], v160 offset:16320
	s_waitcnt lgkmcnt(0)
	v_mul_f64 v[34:35], v[40:41], v[22:23]
	s_delay_alu instid0(VALU_DEP_1) | instskip(SKIP_1) | instid1(VALU_DEP_1)
	v_fma_f64 v[34:35], v[38:39], v[20:21], v[34:35]
	v_mul_f64 v[20:21], v[40:41], v[20:21]
	v_fma_f64 v[38:39], v[38:39], v[22:23], -v[20:21]
	ds_load_b128 v[20:23], v160 offset:22080
	s_waitcnt lgkmcnt(0)
	v_mul_f64 v[40:41], v[46:47], v[22:23]
	s_delay_alu instid0(VALU_DEP_1)
	v_fma_f64 v[42:43], v[44:45], v[20:21], v[40:41]
	v_mul_f64 v[20:21], v[46:47], v[20:21]
	scratch_load_b128 v[46:49], off, off offset:1104 ; 16-byte Folded Reload
	v_fma_f64 v[40:41], v[44:45], v[22:23], -v[20:21]
	ds_load_b128 v[20:23], v160 offset:27840
	s_waitcnt vmcnt(0) lgkmcnt(0)
	v_mul_f64 v[44:45], v[48:49], v[22:23]
	s_delay_alu instid0(VALU_DEP_1) | instskip(SKIP_1) | instid1(VALU_DEP_1)
	v_fma_f64 v[44:45], v[46:47], v[20:21], v[44:45]
	v_mul_f64 v[20:21], v[48:49], v[20:21]
	v_fma_f64 v[46:47], v[46:47], v[22:23], -v[20:21]
	ds_load_b128 v[20:23], v160 offset:33600
	s_waitcnt lgkmcnt(0)
	v_mul_f64 v[48:49], v[130:131], v[22:23]
	s_delay_alu instid0(VALU_DEP_1) | instskip(SKIP_1) | instid1(VALU_DEP_1)
	v_fma_f64 v[50:51], v[128:129], v[20:21], v[48:49]
	v_mul_f64 v[20:21], v[130:131], v[20:21]
	v_fma_f64 v[48:49], v[128:129], v[22:23], -v[20:21]
	v_add_f64 v[128:129], v[28:29], v[144:145]
	ds_load_b128 v[20:23], v160
	s_waitcnt lgkmcnt(0)
	v_fma_f64 v[152:153], v[128:129], -0.5, v[20:21]
	v_add_f64 v[128:129], v[30:31], v[146:147]
	v_add_f64 v[20:21], v[20:21], v[28:29]
	v_add_f64 v[28:29], v[28:29], -v[144:145]
	s_delay_alu instid0(VALU_DEP_3) | instskip(SKIP_4) | instid1(VALU_DEP_4)
	v_fma_f64 v[154:155], v[128:129], -0.5, v[22:23]
	v_add_f64 v[128:129], v[24:25], v[140:141]
	v_add_f64 v[22:23], v[22:23], v[30:31]
	;; [unrolled: 1-line block ×3, first 2 shown]
	v_add_f64 v[30:31], v[30:31], -v[146:147]
	v_add_f64 v[136:137], v[128:129], v[148:149]
	v_add_f64 v[128:129], v[26:27], v[142:143]
	;; [unrolled: 1-line block ×3, first 2 shown]
	s_delay_alu instid0(VALU_DEP_2) | instskip(NEXT) | instid1(VALU_DEP_4)
	v_add_f64 v[138:139], v[128:129], v[150:151]
	v_add_f64 v[128:129], v[20:21], v[136:137]
	v_add_f64 v[136:137], v[20:21], -v[136:137]
	v_add_f64 v[20:21], v[142:143], v[150:151]
	s_delay_alu instid0(VALU_DEP_4) | instskip(SKIP_2) | instid1(VALU_DEP_4)
	v_add_f64 v[130:131], v[22:23], v[138:139]
	v_add_f64 v[138:139], v[22:23], -v[138:139]
	v_add_f64 v[22:23], v[140:141], v[148:149]
	v_fma_f64 v[20:21], v[20:21], -0.5, v[26:27]
	v_add_f64 v[26:27], v[140:141], -v[148:149]
	s_delay_alu instid0(VALU_DEP_3) | instskip(SKIP_1) | instid1(VALU_DEP_3)
	v_fma_f64 v[22:23], v[22:23], -0.5, v[24:25]
	v_add_f64 v[24:25], v[142:143], -v[150:151]
	v_fma_f64 v[140:141], v[26:27], s[0:1], v[20:21]
	v_fma_f64 v[20:21], v[26:27], s[2:3], v[20:21]
	;; [unrolled: 1-line block ×6, first 2 shown]
	v_mul_f64 v[142:143], v[140:141], s[2:3]
	v_mul_f64 v[140:141], v[140:141], 0.5
	v_fma_f64 v[22:23], v[24:25], s[0:1], v[22:23]
	v_mul_f64 v[24:25], v[20:21], s[2:3]
	v_mul_f64 v[20:21], v[20:21], -0.5
	v_fma_f64 v[146:147], v[144:145], 0.5, v[142:143]
	v_fma_f64 v[148:149], v[144:145], s[0:1], v[140:141]
	v_fma_f64 v[144:145], v[30:31], s[2:3], v[152:153]
	v_fma_f64 v[24:25], v[22:23], -0.5, v[24:25]
	v_fma_f64 v[20:21], v[22:23], s[0:1], v[20:21]
	s_delay_alu instid0(VALU_DEP_4) | instskip(NEXT) | instid1(VALU_DEP_4)
	v_add_f64 v[142:143], v[150:151], v[148:149]
	v_add_f64 v[140:141], v[144:145], v[146:147]
	v_add_f64 v[144:145], v[144:145], -v[146:147]
	v_add_f64 v[146:147], v[150:151], -v[148:149]
	v_add_f64 v[148:149], v[26:27], v[24:25]
	v_add_f64 v[150:151], v[28:29], v[20:21]
	v_add_f64 v[152:153], v[26:27], -v[24:25]
	v_add_f64 v[154:155], v[28:29], -v[20:21]
	ds_load_b128 v[20:23], v160 offset:4800
	ds_load_b128 v[156:159], v160 offset:960
	;; [unrolled: 1-line block ×5, first 2 shown]
	s_waitcnt lgkmcnt(0)
	s_barrier
	buffer_gl0_inv
	scratch_load_b32 v165, off, off offset:1136 ; 4-byte Folded Reload
	s_waitcnt vmcnt(0)
	ds_store_b128 v165, v[128:131]
	ds_store_b128 v165, v[136:139] offset:480
	ds_store_b128 v165, v[140:143] offset:160
	;; [unrolled: 1-line block ×5, first 2 shown]
	v_add_f64 v[128:129], v[116:117], v[124:125]
	v_add_f64 v[130:131], v[158:159], v[118:119]
	s_delay_alu instid0(VALU_DEP_2) | instskip(SKIP_1) | instid1(VALU_DEP_3)
	v_fma_f64 v[140:141], v[128:129], -0.5, v[156:157]
	v_add_f64 v[128:129], v[118:119], v[126:127]
	v_add_f64 v[138:139], v[130:131], v[126:127]
	v_add_f64 v[126:127], v[118:119], -v[126:127]
	s_delay_alu instid0(VALU_DEP_3) | instskip(SKIP_1) | instid1(VALU_DEP_1)
	v_fma_f64 v[142:143], v[128:129], -0.5, v[158:159]
	v_add_f64 v[128:129], v[156:157], v[116:117]
	v_add_f64 v[136:137], v[128:129], v[124:125]
	;; [unrolled: 1-line block ×3, first 2 shown]
	v_add_f64 v[124:125], v[116:117], -v[124:125]
	s_delay_alu instid0(VALU_DEP_2) | instskip(SKIP_1) | instid1(VALU_DEP_1)
	v_add_f64 v[144:145], v[128:129], v[134:135]
	v_add_f64 v[128:129], v[114:115], v[120:121]
	;; [unrolled: 1-line block ×3, first 2 shown]
	s_delay_alu instid0(VALU_DEP_3)
	v_add_f64 v[128:129], v[136:137], v[144:145]
	v_add_f64 v[136:137], v[136:137], -v[144:145]
	v_add_f64 v[144:145], v[122:123], v[134:135]
	v_add_f64 v[122:123], v[122:123], -v[134:135]
	;; [unrolled: 2-line block ×4, first 2 shown]
	v_fma_f64 v[146:147], v[124:125], s[0:1], v[142:143]
	v_fma_f64 v[132:133], v[144:145], -0.5, v[112:113]
	v_fma_f64 v[134:135], v[134:135], -0.5, v[114:115]
	s_delay_alu instid0(VALU_DEP_2) | instskip(SKIP_1) | instid1(VALU_DEP_3)
	v_fma_f64 v[116:117], v[120:121], s[2:3], v[132:133]
	v_fma_f64 v[120:121], v[120:121], s[0:1], v[132:133]
	;; [unrolled: 1-line block ×5, first 2 shown]
	s_delay_alu instid0(VALU_DEP_3) | instskip(SKIP_1) | instid1(VALU_DEP_4)
	v_mul_f64 v[114:115], v[112:113], s[2:3]
	v_mul_f64 v[112:113], v[112:113], 0.5
	v_mul_f64 v[124:125], v[122:123], s[2:3]
	v_mul_f64 v[122:123], v[122:123], -0.5
	s_delay_alu instid0(VALU_DEP_4) | instskip(NEXT) | instid1(VALU_DEP_4)
	v_fma_f64 v[118:119], v[116:117], 0.5, v[114:115]
	v_fma_f64 v[144:145], v[116:117], s[0:1], v[112:113]
	v_fma_f64 v[116:117], v[126:127], s[2:3], v[140:141]
	;; [unrolled: 1-line block ×3, first 2 shown]
	v_fma_f64 v[124:125], v[120:121], -0.5, v[124:125]
	v_fma_f64 v[132:133], v[120:121], s[0:1], v[122:123]
	v_add_f64 v[114:115], v[146:147], v[144:145]
	v_add_f64 v[112:113], v[116:117], v[118:119]
	v_add_f64 v[116:117], v[116:117], -v[118:119]
	v_add_f64 v[120:121], v[126:127], v[124:125]
	v_add_f64 v[122:123], v[134:135], v[132:133]
	v_add_f64 v[124:125], v[126:127], -v[124:125]
	v_add_f64 v[126:127], v[134:135], -v[132:133]
	scratch_load_b32 v132, off, off offset:1140 ; 4-byte Folded Reload
	v_add_f64 v[118:119], v[146:147], -v[144:145]
	s_waitcnt vmcnt(0)
	ds_store_b128 v132, v[128:131]
	ds_store_b128 v132, v[112:115] offset:160
	ds_store_b128 v132, v[120:123] offset:320
	;; [unrolled: 1-line block ×5, first 2 shown]
	v_add_f64 v[112:113], v[96:97], v[104:105]
	v_add_f64 v[114:115], v[163:164], v[98:99]
	s_delay_alu instid0(VALU_DEP_2) | instskip(SKIP_1) | instid1(VALU_DEP_3)
	v_fma_f64 v[120:121], v[112:113], -0.5, v[161:162]
	v_add_f64 v[112:113], v[98:99], v[106:107]
	v_add_f64 v[118:119], v[114:115], v[106:107]
	v_add_f64 v[106:107], v[98:99], -v[106:107]
	s_delay_alu instid0(VALU_DEP_3) | instskip(SKIP_1) | instid1(VALU_DEP_1)
	v_fma_f64 v[122:123], v[112:113], -0.5, v[163:164]
	v_add_f64 v[112:113], v[161:162], v[96:97]
	v_add_f64 v[116:117], v[112:113], v[104:105]
	;; [unrolled: 1-line block ×3, first 2 shown]
	v_add_f64 v[104:105], v[96:97], -v[104:105]
	s_delay_alu instid0(VALU_DEP_2) | instskip(SKIP_1) | instid1(VALU_DEP_1)
	v_add_f64 v[124:125], v[112:113], v[110:111]
	v_add_f64 v[112:113], v[94:95], v[100:101]
	;; [unrolled: 1-line block ×3, first 2 shown]
	s_delay_alu instid0(VALU_DEP_3)
	v_add_f64 v[112:113], v[116:117], v[124:125]
	v_add_f64 v[116:117], v[116:117], -v[124:125]
	v_add_f64 v[124:125], v[102:103], v[110:111]
	v_add_f64 v[102:103], v[102:103], -v[110:111]
	;; [unrolled: 2-line block ×4, first 2 shown]
	v_fma_f64 v[126:127], v[104:105], s[0:1], v[122:123]
	v_fma_f64 v[108:109], v[124:125], -0.5, v[92:93]
	v_fma_f64 v[110:111], v[110:111], -0.5, v[94:95]
	s_delay_alu instid0(VALU_DEP_2) | instskip(SKIP_1) | instid1(VALU_DEP_3)
	v_fma_f64 v[96:97], v[100:101], s[2:3], v[108:109]
	v_fma_f64 v[100:101], v[100:101], s[0:1], v[108:109]
	;; [unrolled: 1-line block ×5, first 2 shown]
	s_delay_alu instid0(VALU_DEP_3) | instskip(SKIP_1) | instid1(VALU_DEP_4)
	v_mul_f64 v[94:95], v[92:93], s[2:3]
	v_mul_f64 v[92:93], v[92:93], 0.5
	v_mul_f64 v[104:105], v[102:103], s[2:3]
	v_mul_f64 v[102:103], v[102:103], -0.5
	s_delay_alu instid0(VALU_DEP_4) | instskip(NEXT) | instid1(VALU_DEP_4)
	v_fma_f64 v[98:99], v[96:97], 0.5, v[94:95]
	v_fma_f64 v[124:125], v[96:97], s[0:1], v[92:93]
	v_fma_f64 v[96:97], v[106:107], s[2:3], v[120:121]
	v_fma_f64 v[106:107], v[106:107], s[0:1], v[120:121]
	v_fma_f64 v[104:105], v[100:101], -0.5, v[104:105]
	v_fma_f64 v[108:109], v[100:101], s[0:1], v[102:103]
	v_add_f64 v[94:95], v[126:127], v[124:125]
	v_add_f64 v[92:93], v[96:97], v[98:99]
	v_add_f64 v[96:97], v[96:97], -v[98:99]
	v_add_f64 v[100:101], v[106:107], v[104:105]
	v_add_f64 v[102:103], v[110:111], v[108:109]
	v_add_f64 v[104:105], v[106:107], -v[104:105]
	v_add_f64 v[106:107], v[110:111], -v[108:109]
	scratch_load_b32 v108, off, off offset:1480 ; 4-byte Folded Reload
	v_add_f64 v[98:99], v[126:127], -v[124:125]
	s_waitcnt vmcnt(0)
	ds_store_b128 v108, v[112:115]
	ds_store_b128 v108, v[92:95] offset:160
	ds_store_b128 v108, v[100:103] offset:320
	;; [unrolled: 1-line block ×5, first 2 shown]
	v_add_f64 v[92:93], v[76:77], v[84:85]
	s_delay_alu instid0(VALU_DEP_1) | instskip(SKIP_2) | instid1(VALU_DEP_2)
	v_fma_f64 v[96:97], v[92:93], -0.5, v[28:29]
	v_add_f64 v[92:93], v[78:79], v[86:87]
	v_add_f64 v[28:29], v[28:29], v[76:77]
	v_fma_f64 v[98:99], v[92:93], -0.5, v[30:31]
	s_delay_alu instid0(VALU_DEP_2) | instskip(SKIP_3) | instid1(VALU_DEP_3)
	v_add_f64 v[92:93], v[28:29], v[84:85]
	v_add_f64 v[28:29], v[72:73], v[82:83]
	;; [unrolled: 1-line block ×3, first 2 shown]
	v_add_f64 v[84:85], v[76:77], -v[84:85]
	v_add_f64 v[100:101], v[28:29], v[90:91]
	v_add_f64 v[28:29], v[74:75], v[80:81]
	s_delay_alu instid0(VALU_DEP_4) | instskip(SKIP_1) | instid1(VALU_DEP_3)
	v_add_f64 v[94:95], v[30:31], v[86:87]
	v_add_f64 v[86:87], v[78:79], -v[86:87]
	v_add_f64 v[102:103], v[28:29], v[88:89]
	v_add_f64 v[28:29], v[92:93], v[100:101]
	v_add_f64 v[92:93], v[92:93], -v[100:101]
	v_add_f64 v[100:101], v[80:81], v[88:89]
	v_add_f64 v[80:81], v[80:81], -v[88:89]
	;; [unrolled: 2-line block ×3, first 2 shown]
	v_fma_f64 v[102:103], v[84:85], s[0:1], v[98:99]
	v_fma_f64 v[100:101], v[100:101], -0.5, v[74:75]
	v_add_f64 v[74:75], v[82:83], v[90:91]
	v_add_f64 v[82:83], v[82:83], -v[90:91]
	s_delay_alu instid0(VALU_DEP_2) | instskip(NEXT) | instid1(VALU_DEP_2)
	v_fma_f64 v[90:91], v[74:75], -0.5, v[72:73]
	v_fma_f64 v[72:73], v[82:83], s[0:1], v[100:101]
	v_fma_f64 v[82:83], v[82:83], s[2:3], v[100:101]
	s_delay_alu instid0(VALU_DEP_3) | instskip(NEXT) | instid1(VALU_DEP_3)
	v_fma_f64 v[76:77], v[80:81], s[2:3], v[90:91]
	v_mul_f64 v[74:75], v[72:73], s[2:3]
	v_mul_f64 v[72:73], v[72:73], 0.5
	v_fma_f64 v[80:81], v[80:81], s[0:1], v[90:91]
	s_delay_alu instid0(VALU_DEP_3) | instskip(NEXT) | instid1(VALU_DEP_3)
	v_fma_f64 v[78:79], v[76:77], 0.5, v[74:75]
	v_fma_f64 v[88:89], v[76:77], s[0:1], v[72:73]
	v_fma_f64 v[76:77], v[86:87], s[2:3], v[96:97]
	;; [unrolled: 1-line block ×3, first 2 shown]
	s_delay_alu instid0(VALU_DEP_3) | instskip(NEXT) | instid1(VALU_DEP_3)
	v_add_f64 v[74:75], v[102:103], v[88:89]
	v_add_f64 v[72:73], v[76:77], v[78:79]
	v_add_f64 v[76:77], v[76:77], -v[78:79]
	v_add_f64 v[78:79], v[102:103], -v[88:89]
	v_fma_f64 v[88:89], v[84:85], s[2:3], v[98:99]
	v_mul_f64 v[84:85], v[82:83], s[2:3]
	v_mul_f64 v[82:83], v[82:83], -0.5
	s_delay_alu instid0(VALU_DEP_2) | instskip(NEXT) | instid1(VALU_DEP_2)
	v_fma_f64 v[84:85], v[80:81], -0.5, v[84:85]
	v_fma_f64 v[90:91], v[80:81], s[0:1], v[82:83]
	s_delay_alu instid0(VALU_DEP_2) | instskip(NEXT) | instid1(VALU_DEP_2)
	v_add_f64 v[80:81], v[86:87], v[84:85]
	v_add_f64 v[82:83], v[88:89], v[90:91]
	v_add_f64 v[84:85], v[86:87], -v[84:85]
	v_add_f64 v[86:87], v[88:89], -v[90:91]
	scratch_load_b32 v88, off, off offset:1472 ; 4-byte Folded Reload
	s_waitcnt vmcnt(0)
	ds_store_b128 v88, v[28:31]
	ds_store_b128 v88, v[72:75] offset:160
	ds_store_b128 v88, v[80:83] offset:320
	;; [unrolled: 1-line block ×5, first 2 shown]
	v_add_f64 v[28:29], v[54:55], v[64:65]
	s_delay_alu instid0(VALU_DEP_1) | instskip(SKIP_2) | instid1(VALU_DEP_2)
	v_fma_f64 v[72:73], v[28:29], -0.5, v[24:25]
	v_add_f64 v[28:29], v[58:59], v[66:67]
	v_add_f64 v[24:25], v[24:25], v[54:55]
	v_fma_f64 v[74:75], v[28:29], -0.5, v[26:27]
	s_delay_alu instid0(VALU_DEP_2) | instskip(SKIP_3) | instid1(VALU_DEP_3)
	v_add_f64 v[28:29], v[24:25], v[64:65]
	v_add_f64 v[24:25], v[52:53], v[62:63]
	v_add_f64 v[26:27], v[26:27], v[58:59]
	v_add_f64 v[64:65], v[54:55], -v[64:65]
	v_add_f64 v[76:77], v[24:25], v[70:71]
	v_add_f64 v[24:25], v[56:57], v[60:61]
	s_delay_alu instid0(VALU_DEP_4) | instskip(SKIP_1) | instid1(VALU_DEP_3)
	v_add_f64 v[30:31], v[26:27], v[66:67]
	v_add_f64 v[66:67], v[58:59], -v[66:67]
	v_add_f64 v[78:79], v[24:25], v[68:69]
	v_add_f64 v[24:25], v[28:29], v[76:77]
	v_add_f64 v[28:29], v[28:29], -v[76:77]
	v_add_f64 v[76:77], v[60:61], v[68:69]
	v_add_f64 v[60:61], v[60:61], -v[68:69]
	;; [unrolled: 2-line block ×3, first 2 shown]
	v_fma_f64 v[78:79], v[64:65], s[0:1], v[74:75]
	v_fma_f64 v[76:77], v[76:77], -0.5, v[56:57]
	v_add_f64 v[56:57], v[62:63], v[70:71]
	v_add_f64 v[62:63], v[62:63], -v[70:71]
	s_delay_alu instid0(VALU_DEP_2) | instskip(NEXT) | instid1(VALU_DEP_2)
	v_fma_f64 v[70:71], v[56:57], -0.5, v[52:53]
	v_fma_f64 v[52:53], v[62:63], s[0:1], v[76:77]
	v_fma_f64 v[62:63], v[62:63], s[2:3], v[76:77]
	s_delay_alu instid0(VALU_DEP_3) | instskip(NEXT) | instid1(VALU_DEP_3)
	v_fma_f64 v[56:57], v[60:61], s[2:3], v[70:71]
	v_mul_f64 v[54:55], v[52:53], s[2:3]
	v_mul_f64 v[52:53], v[52:53], 0.5
	v_fma_f64 v[60:61], v[60:61], s[0:1], v[70:71]
	s_delay_alu instid0(VALU_DEP_3) | instskip(NEXT) | instid1(VALU_DEP_3)
	v_fma_f64 v[58:59], v[56:57], 0.5, v[54:55]
	v_fma_f64 v[68:69], v[56:57], s[0:1], v[52:53]
	v_fma_f64 v[56:57], v[66:67], s[2:3], v[72:73]
	v_fma_f64 v[66:67], v[66:67], s[0:1], v[72:73]
	s_delay_alu instid0(VALU_DEP_3) | instskip(NEXT) | instid1(VALU_DEP_3)
	v_add_f64 v[54:55], v[78:79], v[68:69]
	v_add_f64 v[52:53], v[56:57], v[58:59]
	v_add_f64 v[56:57], v[56:57], -v[58:59]
	v_add_f64 v[58:59], v[78:79], -v[68:69]
	v_fma_f64 v[68:69], v[64:65], s[2:3], v[74:75]
	v_mul_f64 v[64:65], v[62:63], s[2:3]
	v_mul_f64 v[62:63], v[62:63], -0.5
	s_delay_alu instid0(VALU_DEP_2) | instskip(NEXT) | instid1(VALU_DEP_2)
	v_fma_f64 v[64:65], v[60:61], -0.5, v[64:65]
	v_fma_f64 v[70:71], v[60:61], s[0:1], v[62:63]
	s_delay_alu instid0(VALU_DEP_2) | instskip(NEXT) | instid1(VALU_DEP_2)
	v_add_f64 v[60:61], v[66:67], v[64:65]
	v_add_f64 v[62:63], v[68:69], v[70:71]
	v_add_f64 v[64:65], v[66:67], -v[64:65]
	v_add_f64 v[66:67], v[68:69], -v[70:71]
	scratch_load_b32 v68, off, off offset:1468 ; 4-byte Folded Reload
	s_waitcnt vmcnt(0)
	ds_store_b128 v68, v[24:27]
	ds_store_b128 v68, v[52:55] offset:160
	ds_store_b128 v68, v[60:63] offset:320
	;; [unrolled: 1-line block ×5, first 2 shown]
	v_add_f64 v[24:25], v[34:35], v[44:45]
	s_delay_alu instid0(VALU_DEP_1) | instskip(SKIP_2) | instid1(VALU_DEP_2)
	v_fma_f64 v[52:53], v[24:25], -0.5, v[20:21]
	v_add_f64 v[24:25], v[38:39], v[46:47]
	v_add_f64 v[20:21], v[20:21], v[34:35]
	v_fma_f64 v[54:55], v[24:25], -0.5, v[22:23]
	s_delay_alu instid0(VALU_DEP_2) | instskip(SKIP_4) | instid1(VALU_DEP_4)
	v_add_f64 v[24:25], v[20:21], v[44:45]
	v_add_f64 v[20:21], v[32:33], v[42:43]
	;; [unrolled: 1-line block ×3, first 2 shown]
	v_add_f64 v[38:39], v[38:39], -v[46:47]
	v_add_f64 v[44:45], v[34:35], -v[44:45]
	v_add_f64 v[28:29], v[20:21], v[50:51]
	v_add_f64 v[20:21], v[36:37], v[40:41]
	;; [unrolled: 1-line block ×3, first 2 shown]
	s_delay_alu instid0(VALU_DEP_2) | instskip(NEXT) | instid1(VALU_DEP_4)
	v_add_f64 v[30:31], v[20:21], v[48:49]
	v_add_f64 v[20:21], v[24:25], v[28:29]
	v_add_f64 v[24:25], v[24:25], -v[28:29]
	v_add_f64 v[28:29], v[40:41], v[48:49]
	v_add_f64 v[40:41], v[40:41], -v[48:49]
	;; [unrolled: 2-line block ×3, first 2 shown]
	s_delay_alu instid0(VALU_DEP_4) | instskip(SKIP_4) | instid1(VALU_DEP_4)
	v_fma_f64 v[36:37], v[28:29], -0.5, v[36:37]
	v_add_f64 v[28:29], v[42:43], v[50:51]
	v_add_f64 v[42:43], v[42:43], -v[50:51]
	v_fma_f64 v[50:51], v[44:45], s[0:1], v[54:55]
	v_fma_f64 v[44:45], v[44:45], s[2:3], v[54:55]
	v_fma_f64 v[46:47], v[28:29], -0.5, v[32:33]
	s_delay_alu instid0(VALU_DEP_4) | instskip(SKIP_2) | instid1(VALU_DEP_4)
	v_fma_f64 v[28:29], v[42:43], s[0:1], v[36:37]
	v_fma_f64 v[36:37], v[42:43], s[2:3], v[36:37]
	;; [unrolled: 1-line block ×4, first 2 shown]
	s_delay_alu instid0(VALU_DEP_4) | instskip(SKIP_1) | instid1(VALU_DEP_2)
	v_mul_f64 v[30:31], v[28:29], s[2:3]
	v_mul_f64 v[28:29], v[28:29], 0.5
	v_fma_f64 v[34:35], v[32:33], 0.5, v[30:31]
	s_delay_alu instid0(VALU_DEP_2)
	v_fma_f64 v[48:49], v[32:33], s[0:1], v[28:29]
	v_fma_f64 v[32:33], v[38:39], s[2:3], v[52:53]
	;; [unrolled: 1-line block ×3, first 2 shown]
	v_mul_f64 v[40:41], v[36:37], s[2:3]
	v_mul_f64 v[36:37], v[36:37], -0.5
	v_add_f64 v[30:31], v[50:51], v[48:49]
	v_add_f64 v[28:29], v[32:33], v[34:35]
	v_add_f64 v[32:33], v[32:33], -v[34:35]
	v_fma_f64 v[40:41], v[38:39], -0.5, v[40:41]
	v_fma_f64 v[46:47], v[38:39], s[0:1], v[36:37]
	v_add_f64 v[34:35], v[50:51], -v[48:49]
	s_delay_alu instid0(VALU_DEP_3) | instskip(NEXT) | instid1(VALU_DEP_3)
	v_add_f64 v[36:37], v[42:43], v[40:41]
	v_add_f64 v[38:39], v[44:45], v[46:47]
	v_add_f64 v[40:41], v[42:43], -v[40:41]
	v_add_f64 v[42:43], v[44:45], -v[46:47]
	scratch_load_b32 v44, off, off offset:1384 ; 4-byte Folded Reload
	s_waitcnt vmcnt(0)
	ds_store_b128 v44, v[20:23]
	ds_store_b128 v44, v[28:31] offset:160
	ds_store_b128 v44, v[36:39] offset:320
	;; [unrolled: 1-line block ×5, first 2 shown]
	s_waitcnt lgkmcnt(0)
	s_barrier
	buffer_gl0_inv
	ds_load_b128 v[20:23], v160 offset:5760
	scratch_load_b128 v[64:67], off, off offset:1452 ; 16-byte Folded Reload
	s_waitcnt lgkmcnt(0)
	v_mul_f64 v[24:25], v[2:3], v[22:23]
	s_delay_alu instid0(VALU_DEP_1) | instskip(SKIP_1) | instid1(VALU_DEP_1)
	v_fma_f64 v[68:69], v[0:1], v[20:21], v[24:25]
	v_mul_f64 v[20:21], v[2:3], v[20:21]
	v_fma_f64 v[70:71], v[0:1], v[22:23], -v[20:21]
	ds_load_b128 v[20:23], v160 offset:6720
	s_waitcnt lgkmcnt(0)
	v_mul_f64 v[24:25], v[2:3], v[22:23]
	v_mul_f64 v[2:3], v[2:3], v[20:21]
	s_delay_alu instid0(VALU_DEP_2) | instskip(NEXT) | instid1(VALU_DEP_2)
	v_fma_f64 v[92:93], v[0:1], v[20:21], v[24:25]
	v_fma_f64 v[94:95], v[0:1], v[22:23], -v[2:3]
	ds_load_b128 v[0:3], v160 offset:11520
	s_waitcnt lgkmcnt(0)
	v_mul_f64 v[20:21], v[18:19], v[2:3]
	s_delay_alu instid0(VALU_DEP_1) | instskip(SKIP_1) | instid1(VALU_DEP_1)
	v_fma_f64 v[72:73], v[16:17], v[0:1], v[20:21]
	v_mul_f64 v[0:1], v[18:19], v[0:1]
	v_fma_f64 v[74:75], v[16:17], v[2:3], -v[0:1]
	ds_load_b128 v[0:3], v160 offset:12480
	s_waitcnt lgkmcnt(0)
	v_mul_f64 v[20:21], v[18:19], v[2:3]
	s_delay_alu instid0(VALU_DEP_1) | instskip(SKIP_1) | instid1(VALU_DEP_1)
	v_fma_f64 v[96:97], v[16:17], v[0:1], v[20:21]
	v_mul_f64 v[0:1], v[18:19], v[0:1]
	;; [unrolled: 7-line block ×3, first 2 shown]
	v_fma_f64 v[78:79], v[12:13], v[2:3], -v[0:1]
	ds_load_b128 v[0:3], v160 offset:18240
	s_waitcnt lgkmcnt(0)
	v_mul_f64 v[16:17], v[14:15], v[2:3]
	s_delay_alu instid0(VALU_DEP_1)
	v_fma_f64 v[100:101], v[12:13], v[0:1], v[16:17]
	v_mul_f64 v[0:1], v[14:15], v[0:1]
	scratch_load_b128 v[16:19], off, off offset:1420 ; 16-byte Folded Reload
	v_fma_f64 v[102:103], v[12:13], v[2:3], -v[0:1]
	ds_load_b128 v[0:3], v160 offset:23040
	s_waitcnt lgkmcnt(0)
	v_mul_f64 v[12:13], v[10:11], v[2:3]
	s_delay_alu instid0(VALU_DEP_1) | instskip(SKIP_1) | instid1(VALU_DEP_1)
	v_fma_f64 v[80:81], v[8:9], v[0:1], v[12:13]
	v_mul_f64 v[0:1], v[10:11], v[0:1]
	v_fma_f64 v[82:83], v[8:9], v[2:3], -v[0:1]
	ds_load_b128 v[0:3], v160 offset:24000
	s_waitcnt lgkmcnt(0)
	v_mul_f64 v[12:13], v[10:11], v[2:3]
	s_delay_alu instid0(VALU_DEP_1)
	v_fma_f64 v[104:105], v[8:9], v[0:1], v[12:13]
	v_mul_f64 v[0:1], v[10:11], v[0:1]
	scratch_load_b128 v[10:13], off, off offset:1404 ; 16-byte Folded Reload
	v_fma_f64 v[106:107], v[8:9], v[2:3], -v[0:1]
	ds_load_b128 v[0:3], v160 offset:28800
	s_waitcnt lgkmcnt(0)
	v_mul_f64 v[8:9], v[6:7], v[2:3]
	s_delay_alu instid0(VALU_DEP_1) | instskip(SKIP_1) | instid1(VALU_DEP_1)
	v_fma_f64 v[84:85], v[4:5], v[0:1], v[8:9]
	v_mul_f64 v[0:1], v[6:7], v[0:1]
	v_fma_f64 v[86:87], v[4:5], v[2:3], -v[0:1]
	ds_load_b128 v[0:3], v160 offset:29760
	s_waitcnt lgkmcnt(0)
	v_mul_f64 v[8:9], v[6:7], v[2:3]
	s_delay_alu instid0(VALU_DEP_1)
	v_fma_f64 v[108:109], v[4:5], v[0:1], v[8:9]
	v_mul_f64 v[0:1], v[6:7], v[0:1]
	scratch_load_b128 v[6:9], off, off offset:1144 ; 16-byte Folded Reload
	v_fma_f64 v[110:111], v[4:5], v[2:3], -v[0:1]
	ds_load_b128 v[0:3], v160 offset:7680
	s_waitcnt vmcnt(0) lgkmcnt(0)
	v_mul_f64 v[4:5], v[8:9], v[2:3]
	s_delay_alu instid0(VALU_DEP_1) | instskip(SKIP_1) | instid1(VALU_DEP_1)
	v_fma_f64 v[116:117], v[6:7], v[0:1], v[4:5]
	v_mul_f64 v[0:1], v[8:9], v[0:1]
	v_fma_f64 v[118:119], v[6:7], v[2:3], -v[0:1]
	scratch_load_b128 v[6:9], off, off offset:1160 ; 16-byte Folded Reload
	ds_load_b128 v[0:3], v160 offset:13440
	s_waitcnt vmcnt(0) lgkmcnt(0)
	v_mul_f64 v[4:5], v[8:9], v[2:3]
	s_delay_alu instid0(VALU_DEP_1) | instskip(SKIP_1) | instid1(VALU_DEP_1)
	v_fma_f64 v[120:121], v[6:7], v[0:1], v[4:5]
	v_mul_f64 v[0:1], v[8:9], v[0:1]
	v_fma_f64 v[122:123], v[6:7], v[2:3], -v[0:1]
	scratch_load_b128 v[6:9], off, off offset:1176 ; 16-byte Folded Reload
	;; [unrolled: 8-line block ×15, first 2 shown]
	ds_load_b128 v[0:3], v160 offset:10560
	s_waitcnt vmcnt(0) lgkmcnt(0)
	v_mul_f64 v[4:5], v[8:9], v[2:3]
	s_delay_alu instid0(VALU_DEP_1) | instskip(SKIP_1) | instid1(VALU_DEP_1)
	v_fma_f64 v[4:5], v[6:7], v[0:1], v[4:5]
	v_mul_f64 v[0:1], v[8:9], v[0:1]
	v_fma_f64 v[8:9], v[6:7], v[2:3], -v[0:1]
	ds_load_b128 v[0:3], v160 offset:16320
	s_waitcnt lgkmcnt(0)
	v_mul_f64 v[6:7], v[12:13], v[2:3]
	s_delay_alu instid0(VALU_DEP_1) | instskip(SKIP_1) | instid1(VALU_DEP_1)
	v_fma_f64 v[6:7], v[10:11], v[0:1], v[6:7]
	v_mul_f64 v[0:1], v[12:13], v[0:1]
	v_fma_f64 v[10:11], v[10:11], v[2:3], -v[0:1]
	ds_load_b128 v[0:3], v160 offset:22080
	s_waitcnt lgkmcnt(0)
	v_mul_f64 v[12:13], v[18:19], v[2:3]
	s_delay_alu instid0(VALU_DEP_1)
	v_fma_f64 v[14:15], v[16:17], v[0:1], v[12:13]
	v_mul_f64 v[0:1], v[18:19], v[0:1]
	scratch_load_b128 v[18:21], off, off offset:1436 ; 16-byte Folded Reload
	v_fma_f64 v[12:13], v[16:17], v[2:3], -v[0:1]
	ds_load_b128 v[0:3], v160 offset:27840
	s_waitcnt vmcnt(0) lgkmcnt(0)
	v_mul_f64 v[16:17], v[20:21], v[2:3]
	s_delay_alu instid0(VALU_DEP_1) | instskip(SKIP_1) | instid1(VALU_DEP_1)
	v_fma_f64 v[16:17], v[18:19], v[0:1], v[16:17]
	v_mul_f64 v[0:1], v[20:21], v[0:1]
	v_fma_f64 v[18:19], v[18:19], v[2:3], -v[0:1]
	ds_load_b128 v[0:3], v160 offset:33600
	s_waitcnt lgkmcnt(0)
	v_mul_f64 v[20:21], v[66:67], v[2:3]
	s_delay_alu instid0(VALU_DEP_1) | instskip(SKIP_1) | instid1(VALU_DEP_1)
	v_fma_f64 v[22:23], v[64:65], v[0:1], v[20:21]
	v_mul_f64 v[0:1], v[66:67], v[0:1]
	v_fma_f64 v[20:21], v[64:65], v[2:3], -v[0:1]
	v_add_f64 v[64:65], v[72:73], v[80:81]
	ds_load_b128 v[0:3], v160
	s_waitcnt lgkmcnt(0)
	v_fma_f64 v[88:89], v[64:65], -0.5, v[0:1]
	v_add_f64 v[64:65], v[74:75], v[82:83]
	v_add_f64 v[0:1], v[0:1], v[72:73]
	s_delay_alu instid0(VALU_DEP_2) | instskip(NEXT) | instid1(VALU_DEP_2)
	v_fma_f64 v[90:91], v[64:65], -0.5, v[2:3]
	v_add_f64 v[64:65], v[0:1], v[80:81]
	v_add_f64 v[0:1], v[68:69], v[76:77]
	;; [unrolled: 1-line block ×3, first 2 shown]
	v_add_f64 v[80:81], v[72:73], -v[80:81]
	s_delay_alu instid0(VALU_DEP_3) | instskip(SKIP_1) | instid1(VALU_DEP_4)
	v_add_f64 v[112:113], v[0:1], v[84:85]
	v_add_f64 v[0:1], v[70:71], v[78:79]
	;; [unrolled: 1-line block ×3, first 2 shown]
	v_add_f64 v[82:83], v[74:75], -v[82:83]
	s_delay_alu instid0(VALU_DEP_3)
	v_add_f64 v[114:115], v[0:1], v[86:87]
	v_add_f64 v[0:1], v[64:65], v[112:113]
	v_add_f64 v[64:65], v[64:65], -v[112:113]
	v_add_f64 v[112:113], v[78:79], v[86:87]
	v_add_f64 v[78:79], v[78:79], -v[86:87]
	v_add_f64 v[2:3], v[66:67], v[114:115]
	v_add_f64 v[66:67], v[66:67], -v[114:115]
	v_fma_f64 v[114:115], v[80:81], s[0:1], v[90:91]
	v_fma_f64 v[112:113], v[112:113], -0.5, v[70:71]
	v_add_f64 v[70:71], v[76:77], v[84:85]
	v_add_f64 v[76:77], v[76:77], -v[84:85]
	s_delay_alu instid0(VALU_DEP_2) | instskip(NEXT) | instid1(VALU_DEP_2)
	v_fma_f64 v[84:85], v[70:71], -0.5, v[68:69]
	v_fma_f64 v[68:69], v[76:77], s[0:1], v[112:113]
	v_fma_f64 v[76:77], v[76:77], s[2:3], v[112:113]
	s_delay_alu instid0(VALU_DEP_3) | instskip(NEXT) | instid1(VALU_DEP_3)
	v_fma_f64 v[72:73], v[78:79], s[2:3], v[84:85]
	v_mul_f64 v[70:71], v[68:69], s[2:3]
	v_mul_f64 v[68:69], v[68:69], 0.5
	v_fma_f64 v[78:79], v[78:79], s[0:1], v[84:85]
	s_delay_alu instid0(VALU_DEP_3) | instskip(NEXT) | instid1(VALU_DEP_3)
	v_fma_f64 v[74:75], v[72:73], 0.5, v[70:71]
	v_fma_f64 v[86:87], v[72:73], s[0:1], v[68:69]
	v_fma_f64 v[72:73], v[82:83], s[2:3], v[88:89]
	v_fma_f64 v[82:83], v[82:83], s[0:1], v[88:89]
	v_add_f64 v[88:89], v[96:97], v[104:105]
	s_delay_alu instid0(VALU_DEP_4) | instskip(NEXT) | instid1(VALU_DEP_4)
	v_add_f64 v[70:71], v[114:115], v[86:87]
	v_add_f64 v[68:69], v[72:73], v[74:75]
	v_add_f64 v[72:73], v[72:73], -v[74:75]
	v_add_f64 v[74:75], v[114:115], -v[86:87]
	v_fma_f64 v[86:87], v[80:81], s[2:3], v[90:91]
	v_mul_f64 v[80:81], v[76:77], s[2:3]
	v_mul_f64 v[76:77], v[76:77], -0.5
	s_delay_alu instid0(VALU_DEP_2) | instskip(NEXT) | instid1(VALU_DEP_2)
	v_fma_f64 v[80:81], v[78:79], -0.5, v[80:81]
	v_fma_f64 v[84:85], v[78:79], s[0:1], v[76:77]
	s_delay_alu instid0(VALU_DEP_2) | instskip(NEXT) | instid1(VALU_DEP_2)
	v_add_f64 v[76:77], v[82:83], v[80:81]
	v_add_f64 v[78:79], v[86:87], v[84:85]
	v_add_f64 v[80:81], v[82:83], -v[80:81]
	v_add_f64 v[82:83], v[86:87], -v[84:85]
	ds_load_b128 v[84:87], v160 offset:960
	s_waitcnt lgkmcnt(0)
	v_fma_f64 v[112:113], v[88:89], -0.5, v[84:85]
	v_add_f64 v[88:89], v[98:99], v[106:107]
	v_add_f64 v[84:85], v[84:85], v[96:97]
	s_delay_alu instid0(VALU_DEP_2) | instskip(NEXT) | instid1(VALU_DEP_2)
	v_fma_f64 v[114:115], v[88:89], -0.5, v[86:87]
	v_add_f64 v[88:89], v[84:85], v[104:105]
	v_add_f64 v[84:85], v[92:93], v[100:101]
	;; [unrolled: 1-line block ×3, first 2 shown]
	v_add_f64 v[104:105], v[96:97], -v[104:105]
	s_delay_alu instid0(VALU_DEP_3) | instskip(SKIP_1) | instid1(VALU_DEP_4)
	v_add_f64 v[136:137], v[84:85], v[108:109]
	v_add_f64 v[84:85], v[94:95], v[102:103]
	;; [unrolled: 1-line block ×3, first 2 shown]
	v_add_f64 v[106:107], v[98:99], -v[106:107]
	s_delay_alu instid0(VALU_DEP_3)
	v_add_f64 v[138:139], v[84:85], v[110:111]
	v_add_f64 v[84:85], v[88:89], v[136:137]
	v_add_f64 v[88:89], v[88:89], -v[136:137]
	v_add_f64 v[136:137], v[102:103], v[110:111]
	v_add_f64 v[102:103], v[102:103], -v[110:111]
	;; [unrolled: 2-line block ×3, first 2 shown]
	v_fma_f64 v[138:139], v[104:105], s[0:1], v[114:115]
	v_fma_f64 v[136:137], v[136:137], -0.5, v[94:95]
	v_add_f64 v[94:95], v[100:101], v[108:109]
	v_add_f64 v[100:101], v[100:101], -v[108:109]
	s_delay_alu instid0(VALU_DEP_2) | instskip(NEXT) | instid1(VALU_DEP_2)
	v_fma_f64 v[108:109], v[94:95], -0.5, v[92:93]
	v_fma_f64 v[92:93], v[100:101], s[0:1], v[136:137]
	v_fma_f64 v[100:101], v[100:101], s[2:3], v[136:137]
	s_delay_alu instid0(VALU_DEP_3) | instskip(NEXT) | instid1(VALU_DEP_3)
	v_fma_f64 v[96:97], v[102:103], s[2:3], v[108:109]
	v_mul_f64 v[94:95], v[92:93], s[2:3]
	v_mul_f64 v[92:93], v[92:93], 0.5
	v_fma_f64 v[102:103], v[102:103], s[0:1], v[108:109]
	s_delay_alu instid0(VALU_DEP_3) | instskip(NEXT) | instid1(VALU_DEP_3)
	v_fma_f64 v[98:99], v[96:97], 0.5, v[94:95]
	v_fma_f64 v[110:111], v[96:97], s[0:1], v[92:93]
	v_fma_f64 v[96:97], v[106:107], s[2:3], v[112:113]
	;; [unrolled: 1-line block ×3, first 2 shown]
	v_add_f64 v[112:113], v[120:121], v[128:129]
	s_delay_alu instid0(VALU_DEP_4) | instskip(NEXT) | instid1(VALU_DEP_4)
	v_add_f64 v[94:95], v[138:139], v[110:111]
	v_add_f64 v[92:93], v[96:97], v[98:99]
	v_add_f64 v[96:97], v[96:97], -v[98:99]
	v_add_f64 v[98:99], v[138:139], -v[110:111]
	v_fma_f64 v[110:111], v[104:105], s[2:3], v[114:115]
	v_mul_f64 v[104:105], v[100:101], s[2:3]
	v_mul_f64 v[100:101], v[100:101], -0.5
	s_delay_alu instid0(VALU_DEP_2) | instskip(NEXT) | instid1(VALU_DEP_2)
	v_fma_f64 v[104:105], v[102:103], -0.5, v[104:105]
	v_fma_f64 v[108:109], v[102:103], s[0:1], v[100:101]
	s_delay_alu instid0(VALU_DEP_2) | instskip(NEXT) | instid1(VALU_DEP_2)
	v_add_f64 v[100:101], v[106:107], v[104:105]
	v_add_f64 v[102:103], v[110:111], v[108:109]
	v_add_f64 v[104:105], v[106:107], -v[104:105]
	v_add_f64 v[106:107], v[110:111], -v[108:109]
	ds_load_b128 v[108:111], v160 offset:1920
	s_waitcnt lgkmcnt(0)
	v_fma_f64 v[136:137], v[112:113], -0.5, v[108:109]
	v_add_f64 v[112:113], v[122:123], v[130:131]
	v_add_f64 v[108:109], v[108:109], v[120:121]
	s_delay_alu instid0(VALU_DEP_2) | instskip(NEXT) | instid1(VALU_DEP_2)
	v_fma_f64 v[138:139], v[112:113], -0.5, v[110:111]
	v_add_f64 v[112:113], v[108:109], v[128:129]
	v_add_f64 v[108:109], v[116:117], v[124:125]
	v_add_f64 v[110:111], v[110:111], v[122:123]
	v_add_f64 v[128:129], v[120:121], -v[128:129]
	s_delay_alu instid0(VALU_DEP_3) | instskip(SKIP_1) | instid1(VALU_DEP_4)
	v_add_f64 v[140:141], v[108:109], v[132:133]
	v_add_f64 v[108:109], v[118:119], v[126:127]
	;; [unrolled: 1-line block ×3, first 2 shown]
	v_add_f64 v[130:131], v[122:123], -v[130:131]
	s_delay_alu instid0(VALU_DEP_3)
	v_add_f64 v[142:143], v[108:109], v[134:135]
	v_add_f64 v[108:109], v[112:113], v[140:141]
	v_add_f64 v[112:113], v[112:113], -v[140:141]
	v_add_f64 v[140:141], v[126:127], v[134:135]
	v_add_f64 v[126:127], v[126:127], -v[134:135]
	;; [unrolled: 2-line block ×3, first 2 shown]
	v_fma_f64 v[142:143], v[128:129], s[0:1], v[138:139]
	v_fma_f64 v[140:141], v[140:141], -0.5, v[118:119]
	v_add_f64 v[118:119], v[124:125], v[132:133]
	v_add_f64 v[124:125], v[124:125], -v[132:133]
	s_delay_alu instid0(VALU_DEP_2) | instskip(NEXT) | instid1(VALU_DEP_2)
	v_fma_f64 v[132:133], v[118:119], -0.5, v[116:117]
	v_fma_f64 v[116:117], v[124:125], s[0:1], v[140:141]
	v_fma_f64 v[124:125], v[124:125], s[2:3], v[140:141]
	s_delay_alu instid0(VALU_DEP_3) | instskip(NEXT) | instid1(VALU_DEP_3)
	v_fma_f64 v[120:121], v[126:127], s[2:3], v[132:133]
	v_mul_f64 v[118:119], v[116:117], s[2:3]
	v_mul_f64 v[116:117], v[116:117], 0.5
	v_fma_f64 v[126:127], v[126:127], s[0:1], v[132:133]
	s_delay_alu instid0(VALU_DEP_3) | instskip(NEXT) | instid1(VALU_DEP_3)
	v_fma_f64 v[122:123], v[120:121], 0.5, v[118:119]
	v_fma_f64 v[134:135], v[120:121], s[0:1], v[116:117]
	v_fma_f64 v[120:121], v[130:131], s[2:3], v[136:137]
	;; [unrolled: 1-line block ×3, first 2 shown]
	s_delay_alu instid0(VALU_DEP_3) | instskip(NEXT) | instid1(VALU_DEP_3)
	v_add_f64 v[118:119], v[142:143], v[134:135]
	v_add_f64 v[116:117], v[120:121], v[122:123]
	v_add_f64 v[120:121], v[120:121], -v[122:123]
	v_add_f64 v[122:123], v[142:143], -v[134:135]
	v_fma_f64 v[134:135], v[128:129], s[2:3], v[138:139]
	v_mul_f64 v[128:129], v[124:125], s[2:3]
	v_mul_f64 v[124:125], v[124:125], -0.5
	s_delay_alu instid0(VALU_DEP_2) | instskip(NEXT) | instid1(VALU_DEP_2)
	v_fma_f64 v[128:129], v[126:127], -0.5, v[128:129]
	v_fma_f64 v[132:133], v[126:127], s[0:1], v[124:125]
	s_delay_alu instid0(VALU_DEP_2) | instskip(NEXT) | instid1(VALU_DEP_2)
	v_add_f64 v[124:125], v[130:131], v[128:129]
	v_add_f64 v[126:127], v[134:135], v[132:133]
	v_add_f64 v[128:129], v[130:131], -v[128:129]
	v_add_f64 v[130:131], v[134:135], -v[132:133]
	ds_load_b128 v[132:135], v160 offset:4800
	ds_load_b128 v[136:139], v160 offset:2880
	;; [unrolled: 1-line block ×3, first 2 shown]
	s_waitcnt lgkmcnt(0)
	s_barrier
	buffer_gl0_inv
	ds_store_b128 v160, v[0:3]
	ds_store_b128 v160, v[68:71] offset:960
	ds_store_b128 v160, v[76:79] offset:1920
	;; [unrolled: 1-line block ×11, first 2 shown]
	scratch_load_b32 v0, off, off offset:1588 ; 4-byte Folded Reload
	s_waitcnt vmcnt(0)
	ds_store_b128 v0, v[108:111] offset:11520
	ds_store_b128 v0, v[116:119] offset:12480
	;; [unrolled: 1-line block ×6, first 2 shown]
	v_add_f64 v[0:1], v[48:49], v[56:57]
	v_add_f64 v[2:3], v[138:139], v[50:51]
	s_delay_alu instid0(VALU_DEP_2) | instskip(SKIP_1) | instid1(VALU_DEP_3)
	v_fma_f64 v[68:69], v[0:1], -0.5, v[136:137]
	v_add_f64 v[0:1], v[50:51], v[58:59]
	v_add_f64 v[66:67], v[2:3], v[58:59]
	v_add_f64 v[58:59], v[50:51], -v[58:59]
	s_delay_alu instid0(VALU_DEP_3) | instskip(SKIP_1) | instid1(VALU_DEP_1)
	v_fma_f64 v[70:71], v[0:1], -0.5, v[138:139]
	v_add_f64 v[0:1], v[136:137], v[48:49]
	v_add_f64 v[64:65], v[0:1], v[56:57]
	;; [unrolled: 1-line block ×3, first 2 shown]
	v_add_f64 v[56:57], v[48:49], -v[56:57]
	s_delay_alu instid0(VALU_DEP_2) | instskip(SKIP_1) | instid1(VALU_DEP_1)
	v_add_f64 v[72:73], v[0:1], v[62:63]
	v_add_f64 v[0:1], v[46:47], v[52:53]
	;; [unrolled: 1-line block ×3, first 2 shown]
	s_delay_alu instid0(VALU_DEP_3)
	v_add_f64 v[0:1], v[64:65], v[72:73]
	v_add_f64 v[64:65], v[64:65], -v[72:73]
	v_add_f64 v[72:73], v[52:53], v[60:61]
	v_add_f64 v[52:53], v[52:53], -v[60:61]
	;; [unrolled: 2-line block ×3, first 2 shown]
	v_fma_f64 v[74:75], v[56:57], s[0:1], v[70:71]
	v_fma_f64 v[72:73], v[72:73], -0.5, v[46:47]
	v_add_f64 v[46:47], v[54:55], v[62:63]
	v_add_f64 v[54:55], v[54:55], -v[62:63]
	s_delay_alu instid0(VALU_DEP_2) | instskip(NEXT) | instid1(VALU_DEP_2)
	v_fma_f64 v[62:63], v[46:47], -0.5, v[44:45]
	v_fma_f64 v[44:45], v[54:55], s[0:1], v[72:73]
	v_fma_f64 v[54:55], v[54:55], s[2:3], v[72:73]
	s_delay_alu instid0(VALU_DEP_3) | instskip(NEXT) | instid1(VALU_DEP_3)
	v_fma_f64 v[48:49], v[52:53], s[2:3], v[62:63]
	v_mul_f64 v[46:47], v[44:45], s[2:3]
	v_mul_f64 v[44:45], v[44:45], 0.5
	v_fma_f64 v[52:53], v[52:53], s[0:1], v[62:63]
	s_delay_alu instid0(VALU_DEP_3) | instskip(NEXT) | instid1(VALU_DEP_3)
	v_fma_f64 v[50:51], v[48:49], 0.5, v[46:47]
	v_fma_f64 v[60:61], v[48:49], s[0:1], v[44:45]
	v_fma_f64 v[48:49], v[58:59], s[2:3], v[68:69]
	;; [unrolled: 1-line block ×3, first 2 shown]
	s_delay_alu instid0(VALU_DEP_3) | instskip(NEXT) | instid1(VALU_DEP_3)
	v_add_f64 v[46:47], v[74:75], v[60:61]
	v_add_f64 v[44:45], v[48:49], v[50:51]
	v_add_f64 v[48:49], v[48:49], -v[50:51]
	v_add_f64 v[50:51], v[74:75], -v[60:61]
	v_fma_f64 v[60:61], v[56:57], s[2:3], v[70:71]
	v_mul_f64 v[56:57], v[54:55], s[2:3]
	v_mul_f64 v[54:55], v[54:55], -0.5
	s_delay_alu instid0(VALU_DEP_2) | instskip(NEXT) | instid1(VALU_DEP_2)
	v_fma_f64 v[56:57], v[52:53], -0.5, v[56:57]
	v_fma_f64 v[62:63], v[52:53], s[0:1], v[54:55]
	s_delay_alu instid0(VALU_DEP_2) | instskip(NEXT) | instid1(VALU_DEP_2)
	v_add_f64 v[52:53], v[58:59], v[56:57]
	v_add_f64 v[54:55], v[60:61], v[62:63]
	v_add_f64 v[56:57], v[58:59], -v[56:57]
	v_add_f64 v[58:59], v[60:61], -v[62:63]
	scratch_load_b32 v60, off, off offset:1552 ; 4-byte Folded Reload
	s_waitcnt vmcnt(0)
	ds_store_b128 v60, v[0:3] offset:17280
	ds_store_b128 v60, v[44:47] offset:18240
	;; [unrolled: 1-line block ×6, first 2 shown]
	v_add_f64 v[0:1], v[26:27], v[36:37]
	v_add_f64 v[2:3], v[142:143], v[30:31]
	s_delay_alu instid0(VALU_DEP_2) | instskip(SKIP_1) | instid1(VALU_DEP_3)
	v_fma_f64 v[48:49], v[0:1], -0.5, v[140:141]
	v_add_f64 v[0:1], v[30:31], v[38:39]
	v_add_f64 v[46:47], v[2:3], v[38:39]
	v_add_f64 v[38:39], v[30:31], -v[38:39]
	s_delay_alu instid0(VALU_DEP_3) | instskip(SKIP_1) | instid1(VALU_DEP_1)
	v_fma_f64 v[50:51], v[0:1], -0.5, v[142:143]
	v_add_f64 v[0:1], v[140:141], v[26:27]
	v_add_f64 v[44:45], v[0:1], v[36:37]
	;; [unrolled: 1-line block ×3, first 2 shown]
	v_add_f64 v[36:37], v[26:27], -v[36:37]
	s_delay_alu instid0(VALU_DEP_2) | instskip(SKIP_1) | instid1(VALU_DEP_1)
	v_add_f64 v[52:53], v[0:1], v[42:43]
	v_add_f64 v[0:1], v[28:29], v[32:33]
	;; [unrolled: 1-line block ×3, first 2 shown]
	s_delay_alu instid0(VALU_DEP_3)
	v_add_f64 v[0:1], v[44:45], v[52:53]
	v_add_f64 v[44:45], v[44:45], -v[52:53]
	v_add_f64 v[52:53], v[32:33], v[40:41]
	v_add_f64 v[32:33], v[32:33], -v[40:41]
	;; [unrolled: 2-line block ×3, first 2 shown]
	v_fma_f64 v[54:55], v[36:37], s[0:1], v[50:51]
	v_fma_f64 v[52:53], v[52:53], -0.5, v[28:29]
	v_add_f64 v[28:29], v[34:35], v[42:43]
	v_add_f64 v[34:35], v[34:35], -v[42:43]
	s_delay_alu instid0(VALU_DEP_2) | instskip(NEXT) | instid1(VALU_DEP_2)
	v_fma_f64 v[42:43], v[28:29], -0.5, v[24:25]
	v_fma_f64 v[24:25], v[34:35], s[0:1], v[52:53]
	v_fma_f64 v[34:35], v[34:35], s[2:3], v[52:53]
	s_delay_alu instid0(VALU_DEP_3) | instskip(NEXT) | instid1(VALU_DEP_3)
	v_fma_f64 v[28:29], v[32:33], s[2:3], v[42:43]
	v_mul_f64 v[26:27], v[24:25], s[2:3]
	v_mul_f64 v[24:25], v[24:25], 0.5
	v_fma_f64 v[32:33], v[32:33], s[0:1], v[42:43]
	s_delay_alu instid0(VALU_DEP_3) | instskip(NEXT) | instid1(VALU_DEP_3)
	v_fma_f64 v[30:31], v[28:29], 0.5, v[26:27]
	v_fma_f64 v[40:41], v[28:29], s[0:1], v[24:25]
	v_fma_f64 v[28:29], v[38:39], s[2:3], v[48:49]
	;; [unrolled: 1-line block ×3, first 2 shown]
	s_delay_alu instid0(VALU_DEP_3) | instskip(NEXT) | instid1(VALU_DEP_3)
	v_add_f64 v[26:27], v[54:55], v[40:41]
	v_add_f64 v[24:25], v[28:29], v[30:31]
	v_add_f64 v[28:29], v[28:29], -v[30:31]
	v_add_f64 v[30:31], v[54:55], -v[40:41]
	v_fma_f64 v[40:41], v[36:37], s[2:3], v[50:51]
	v_mul_f64 v[36:37], v[34:35], s[2:3]
	v_mul_f64 v[34:35], v[34:35], -0.5
	s_delay_alu instid0(VALU_DEP_2) | instskip(NEXT) | instid1(VALU_DEP_2)
	v_fma_f64 v[36:37], v[32:33], -0.5, v[36:37]
	v_fma_f64 v[42:43], v[32:33], s[0:1], v[34:35]
	s_delay_alu instid0(VALU_DEP_2) | instskip(NEXT) | instid1(VALU_DEP_2)
	v_add_f64 v[32:33], v[38:39], v[36:37]
	v_add_f64 v[34:35], v[40:41], v[42:43]
	v_add_f64 v[36:37], v[38:39], -v[36:37]
	v_add_f64 v[38:39], v[40:41], -v[42:43]
	scratch_load_b32 v40, off, off offset:1500 ; 4-byte Folded Reload
	s_waitcnt vmcnt(0)
	ds_store_b128 v40, v[0:3] offset:23040
	ds_store_b128 v40, v[24:27] offset:24000
	;; [unrolled: 1-line block ×6, first 2 shown]
	v_add_f64 v[0:1], v[6:7], v[16:17]
	v_add_f64 v[2:3], v[134:135], v[10:11]
	s_delay_alu instid0(VALU_DEP_2) | instskip(SKIP_1) | instid1(VALU_DEP_3)
	v_fma_f64 v[28:29], v[0:1], -0.5, v[132:133]
	v_add_f64 v[0:1], v[10:11], v[18:19]
	v_add_f64 v[26:27], v[2:3], v[18:19]
	v_add_f64 v[18:19], v[10:11], -v[18:19]
	s_delay_alu instid0(VALU_DEP_3) | instskip(SKIP_1) | instid1(VALU_DEP_1)
	v_fma_f64 v[30:31], v[0:1], -0.5, v[134:135]
	v_add_f64 v[0:1], v[132:133], v[6:7]
	v_add_f64 v[24:25], v[0:1], v[16:17]
	;; [unrolled: 1-line block ×3, first 2 shown]
	v_add_f64 v[16:17], v[6:7], -v[16:17]
	s_delay_alu instid0(VALU_DEP_2) | instskip(SKIP_1) | instid1(VALU_DEP_1)
	v_add_f64 v[32:33], v[0:1], v[22:23]
	v_add_f64 v[0:1], v[8:9], v[12:13]
	;; [unrolled: 1-line block ×3, first 2 shown]
	s_delay_alu instid0(VALU_DEP_3)
	v_add_f64 v[0:1], v[24:25], v[32:33]
	v_add_f64 v[24:25], v[24:25], -v[32:33]
	v_add_f64 v[32:33], v[12:13], v[20:21]
	v_add_f64 v[12:13], v[12:13], -v[20:21]
	;; [unrolled: 2-line block ×3, first 2 shown]
	v_fma_f64 v[34:35], v[16:17], s[0:1], v[30:31]
	v_fma_f64 v[32:33], v[32:33], -0.5, v[8:9]
	v_add_f64 v[8:9], v[14:15], v[22:23]
	v_add_f64 v[14:15], v[14:15], -v[22:23]
	s_delay_alu instid0(VALU_DEP_2) | instskip(NEXT) | instid1(VALU_DEP_2)
	v_fma_f64 v[22:23], v[8:9], -0.5, v[4:5]
	v_fma_f64 v[4:5], v[14:15], s[0:1], v[32:33]
	v_fma_f64 v[14:15], v[14:15], s[2:3], v[32:33]
	s_delay_alu instid0(VALU_DEP_3) | instskip(NEXT) | instid1(VALU_DEP_3)
	v_fma_f64 v[8:9], v[12:13], s[2:3], v[22:23]
	v_mul_f64 v[6:7], v[4:5], s[2:3]
	v_mul_f64 v[4:5], v[4:5], 0.5
	v_fma_f64 v[12:13], v[12:13], s[0:1], v[22:23]
	s_delay_alu instid0(VALU_DEP_3) | instskip(NEXT) | instid1(VALU_DEP_3)
	v_fma_f64 v[10:11], v[8:9], 0.5, v[6:7]
	v_fma_f64 v[20:21], v[8:9], s[0:1], v[4:5]
	v_fma_f64 v[8:9], v[18:19], s[2:3], v[28:29]
	;; [unrolled: 1-line block ×3, first 2 shown]
	s_delay_alu instid0(VALU_DEP_3) | instskip(NEXT) | instid1(VALU_DEP_3)
	v_add_f64 v[6:7], v[34:35], v[20:21]
	v_add_f64 v[4:5], v[8:9], v[10:11]
	v_add_f64 v[8:9], v[8:9], -v[10:11]
	v_add_f64 v[10:11], v[34:35], -v[20:21]
	v_fma_f64 v[20:21], v[16:17], s[2:3], v[30:31]
	v_mul_f64 v[16:17], v[14:15], s[2:3]
	v_mul_f64 v[14:15], v[14:15], -0.5
	s_delay_alu instid0(VALU_DEP_2) | instskip(NEXT) | instid1(VALU_DEP_2)
	v_fma_f64 v[16:17], v[12:13], -0.5, v[16:17]
	v_fma_f64 v[22:23], v[12:13], s[0:1], v[14:15]
	s_delay_alu instid0(VALU_DEP_2) | instskip(NEXT) | instid1(VALU_DEP_2)
	v_add_f64 v[12:13], v[18:19], v[16:17]
	v_add_f64 v[14:15], v[20:21], v[22:23]
	v_add_f64 v[16:17], v[18:19], -v[16:17]
	v_add_f64 v[18:19], v[20:21], -v[22:23]
	scratch_load_b32 v20, off, off offset:1476 ; 4-byte Folded Reload
	s_waitcnt vmcnt(0)
	ds_store_b128 v20, v[4:7] offset:29760
	ds_store_b128 v20, v[12:15] offset:30720
	;; [unrolled: 1-line block ×6, first 2 shown]
	s_waitcnt lgkmcnt(0)
	s_barrier
	buffer_gl0_inv
	s_clause 0x3
	scratch_load_b128 v[10:13], off, off offset:1484
	scratch_load_b128 v[14:17], off, off offset:1504
	;; [unrolled: 1-line block ×4, first 2 shown]
	ds_load_b128 v[0:3], v160 offset:5760
	scratch_load_b128 v[26:29], off, off offset:1556 ; 16-byte Folded Reload
	s_waitcnt vmcnt(4) lgkmcnt(0)
	v_mul_f64 v[4:5], v[12:13], v[2:3]
	s_delay_alu instid0(VALU_DEP_1) | instskip(SKIP_1) | instid1(VALU_DEP_1)
	v_fma_f64 v[8:9], v[10:11], v[0:1], v[4:5]
	v_mul_f64 v[0:1], v[12:13], v[0:1]
	v_fma_f64 v[10:11], v[10:11], v[2:3], -v[0:1]
	ds_load_b128 v[0:3], v160 offset:11520
	s_waitcnt vmcnt(3) lgkmcnt(0)
	v_mul_f64 v[4:5], v[16:17], v[2:3]
	s_delay_alu instid0(VALU_DEP_1) | instskip(SKIP_1) | instid1(VALU_DEP_1)
	v_fma_f64 v[12:13], v[14:15], v[0:1], v[4:5]
	v_mul_f64 v[0:1], v[16:17], v[0:1]
	v_fma_f64 v[14:15], v[14:15], v[2:3], -v[0:1]
	ds_load_b128 v[0:3], v160 offset:17280
	s_waitcnt vmcnt(2) lgkmcnt(0)
	v_mul_f64 v[4:5], v[20:21], v[2:3]
	s_delay_alu instid0(VALU_DEP_1) | instskip(SKIP_1) | instid1(VALU_DEP_1)
	v_fma_f64 v[16:17], v[18:19], v[0:1], v[4:5]
	v_mul_f64 v[0:1], v[20:21], v[0:1]
	v_fma_f64 v[18:19], v[18:19], v[2:3], -v[0:1]
	ds_load_b128 v[0:3], v160 offset:23040
	s_waitcnt vmcnt(1) lgkmcnt(0)
	v_mul_f64 v[4:5], v[24:25], v[2:3]
	s_delay_alu instid0(VALU_DEP_1) | instskip(SKIP_1) | instid1(VALU_DEP_1)
	v_fma_f64 v[20:21], v[22:23], v[0:1], v[4:5]
	v_mul_f64 v[0:1], v[24:25], v[0:1]
	v_fma_f64 v[22:23], v[22:23], v[2:3], -v[0:1]
	ds_load_b128 v[0:3], v160 offset:28800
	s_waitcnt vmcnt(0) lgkmcnt(0)
	v_mul_f64 v[4:5], v[28:29], v[2:3]
	s_delay_alu instid0(VALU_DEP_1)
	v_fma_f64 v[24:25], v[26:27], v[0:1], v[4:5]
	v_mul_f64 v[0:1], v[28:29], v[0:1]
	scratch_load_b128 v[28:31], off, off offset:1572 ; 16-byte Folded Reload
	v_fma_f64 v[26:27], v[26:27], v[2:3], -v[0:1]
	ds_load_b128 v[0:3], v160 offset:6720
	s_waitcnt vmcnt(0) lgkmcnt(0)
	v_mul_f64 v[4:5], v[30:31], v[2:3]
	s_delay_alu instid0(VALU_DEP_1) | instskip(SKIP_1) | instid1(VALU_DEP_1)
	v_fma_f64 v[32:33], v[28:29], v[0:1], v[4:5]
	v_mul_f64 v[0:1], v[30:31], v[0:1]
	v_fma_f64 v[34:35], v[28:29], v[2:3], -v[0:1]
	scratch_load_b128 v[28:31], off, off offset:1592 ; 16-byte Folded Reload
	ds_load_b128 v[0:3], v160 offset:12480
	s_waitcnt vmcnt(0) lgkmcnt(0)
	v_mul_f64 v[4:5], v[30:31], v[2:3]
	s_delay_alu instid0(VALU_DEP_1) | instskip(SKIP_1) | instid1(VALU_DEP_1)
	v_fma_f64 v[36:37], v[28:29], v[0:1], v[4:5]
	v_mul_f64 v[0:1], v[30:31], v[0:1]
	v_fma_f64 v[38:39], v[28:29], v[2:3], -v[0:1]
	scratch_load_b128 v[28:31], off, off offset:1608 ; 16-byte Folded Reload
	;; [unrolled: 8-line block ×24, first 2 shown]
	ds_load_b128 v[0:3], v160 offset:33600
	s_waitcnt vmcnt(0) lgkmcnt(0)
	v_mul_f64 v[4:5], v[30:31], v[2:3]
	s_delay_alu instid0(VALU_DEP_1) | instskip(SKIP_2) | instid1(VALU_DEP_2)
	v_fma_f64 v[66:67], v[28:29], v[0:1], v[4:5]
	v_mul_f64 v[0:1], v[30:31], v[0:1]
	v_add_f64 v[4:5], v[12:13], v[20:21]
	v_fma_f64 v[64:65], v[28:29], v[2:3], -v[0:1]
	ds_load_b128 v[0:3], v160
	s_waitcnt lgkmcnt(0)
	v_fma_f64 v[28:29], v[4:5], -0.5, v[0:1]
	v_add_f64 v[4:5], v[14:15], v[22:23]
	v_add_f64 v[0:1], v[0:1], v[12:13]
	v_add_f64 v[12:13], v[12:13], -v[20:21]
	s_delay_alu instid0(VALU_DEP_3) | instskip(NEXT) | instid1(VALU_DEP_3)
	v_fma_f64 v[30:31], v[4:5], -0.5, v[2:3]
	v_add_f64 v[4:5], v[0:1], v[20:21]
	v_add_f64 v[0:1], v[8:9], v[16:17]
	;; [unrolled: 1-line block ×3, first 2 shown]
	v_add_f64 v[14:15], v[14:15], -v[22:23]
	s_delay_alu instid0(VALU_DEP_3) | instskip(SKIP_1) | instid1(VALU_DEP_4)
	v_add_f64 v[92:93], v[0:1], v[24:25]
	v_add_f64 v[0:1], v[10:11], v[18:19]
	;; [unrolled: 1-line block ×3, first 2 shown]
	v_add_f64 v[22:23], v[18:19], -v[26:27]
	s_delay_alu instid0(VALU_DEP_3) | instskip(SKIP_3) | instid1(VALU_DEP_4)
	v_add_f64 v[94:95], v[0:1], v[26:27]
	v_add_f64 v[0:1], v[4:5], v[92:93]
	v_add_f64 v[4:5], v[4:5], -v[92:93]
	v_add_f64 v[92:93], v[18:19], v[26:27]
	v_add_f64 v[2:3], v[6:7], v[94:95]
	v_add_f64 v[6:7], v[6:7], -v[94:95]
	v_fma_f64 v[94:95], v[12:13], s[0:1], v[30:31]
	s_delay_alu instid0(VALU_DEP_4) | instskip(SKIP_2) | instid1(VALU_DEP_2)
	v_fma_f64 v[92:93], v[92:93], -0.5, v[10:11]
	v_add_f64 v[10:11], v[16:17], v[24:25]
	v_add_f64 v[24:25], v[16:17], -v[24:25]
	v_fma_f64 v[20:21], v[10:11], -0.5, v[8:9]
	s_delay_alu instid0(VALU_DEP_2) | instskip(SKIP_1) | instid1(VALU_DEP_3)
	v_fma_f64 v[8:9], v[24:25], s[0:1], v[92:93]
	v_fma_f64 v[24:25], v[24:25], s[2:3], v[92:93]
	v_fma_f64 v[16:17], v[22:23], s[2:3], v[20:21]
	s_delay_alu instid0(VALU_DEP_3) | instskip(SKIP_1) | instid1(VALU_DEP_2)
	v_mul_f64 v[10:11], v[8:9], s[2:3]
	v_mul_f64 v[8:9], v[8:9], 0.5
	v_fma_f64 v[10:11], v[16:17], 0.5, v[10:11]
	s_delay_alu instid0(VALU_DEP_2) | instskip(SKIP_2) | instid1(VALU_DEP_3)
	v_fma_f64 v[26:27], v[16:17], s[0:1], v[8:9]
	v_fma_f64 v[8:9], v[14:15], s[2:3], v[28:29]
	;; [unrolled: 1-line block ×3, first 2 shown]
	v_add_f64 v[18:19], v[94:95], v[26:27]
	s_delay_alu instid0(VALU_DEP_3)
	v_add_f64 v[16:17], v[8:9], v[10:11]
	v_add_f64 v[8:9], v[8:9], -v[10:11]
	v_add_f64 v[10:11], v[94:95], -v[26:27]
	v_fma_f64 v[26:27], v[12:13], s[2:3], v[30:31]
	v_fma_f64 v[12:13], v[22:23], s[0:1], v[20:21]
	v_mul_f64 v[20:21], v[24:25], s[2:3]
	v_mul_f64 v[22:23], v[24:25], -0.5
	s_delay_alu instid0(VALU_DEP_2) | instskip(NEXT) | instid1(VALU_DEP_2)
	v_fma_f64 v[24:25], v[12:13], -0.5, v[20:21]
	v_fma_f64 v[28:29], v[12:13], s[0:1], v[22:23]
	s_delay_alu instid0(VALU_DEP_2) | instskip(NEXT) | instid1(VALU_DEP_2)
	v_add_f64 v[20:21], v[14:15], v[24:25]
	v_add_f64 v[22:23], v[26:27], v[28:29]
	v_add_f64 v[12:13], v[14:15], -v[24:25]
	v_add_f64 v[14:15], v[26:27], -v[28:29]
	v_add_f64 v[28:29], v[36:37], v[44:45]
	ds_load_b128 v[24:27], v160 offset:960
	s_waitcnt lgkmcnt(0)
	v_fma_f64 v[92:93], v[28:29], -0.5, v[24:25]
	v_add_f64 v[28:29], v[38:39], v[46:47]
	v_add_f64 v[24:25], v[24:25], v[36:37]
	v_add_f64 v[36:37], v[36:37], -v[44:45]
	s_delay_alu instid0(VALU_DEP_3) | instskip(SKIP_1) | instid1(VALU_DEP_4)
	v_fma_f64 v[94:95], v[28:29], -0.5, v[26:27]
	v_add_f64 v[28:29], v[32:33], v[40:41]
	v_add_f64 v[24:25], v[24:25], v[44:45]
	;; [unrolled: 1-line block ×3, first 2 shown]
	v_add_f64 v[38:39], v[38:39], -v[46:47]
	s_delay_alu instid0(VALU_DEP_4) | instskip(SKIP_1) | instid1(VALU_DEP_4)
	v_add_f64 v[116:117], v[28:29], v[88:89]
	v_add_f64 v[28:29], v[34:35], v[42:43]
	;; [unrolled: 1-line block ×3, first 2 shown]
	v_add_f64 v[46:47], v[42:43], -v[90:91]
	s_delay_alu instid0(VALU_DEP_3) | instskip(SKIP_3) | instid1(VALU_DEP_4)
	v_add_f64 v[118:119], v[28:29], v[90:91]
	v_add_f64 v[28:29], v[24:25], v[116:117]
	v_add_f64 v[24:25], v[24:25], -v[116:117]
	v_add_f64 v[116:117], v[42:43], v[90:91]
	v_add_f64 v[30:31], v[26:27], v[118:119]
	v_add_f64 v[26:27], v[26:27], -v[118:119]
	v_fma_f64 v[118:119], v[36:37], s[0:1], v[94:95]
	s_delay_alu instid0(VALU_DEP_4) | instskip(SKIP_2) | instid1(VALU_DEP_2)
	v_fma_f64 v[116:117], v[116:117], -0.5, v[34:35]
	v_add_f64 v[34:35], v[40:41], v[88:89]
	v_add_f64 v[88:89], v[40:41], -v[88:89]
	v_fma_f64 v[44:45], v[34:35], -0.5, v[32:33]
	s_delay_alu instid0(VALU_DEP_2) | instskip(SKIP_1) | instid1(VALU_DEP_3)
	v_fma_f64 v[32:33], v[88:89], s[0:1], v[116:117]
	v_fma_f64 v[88:89], v[88:89], s[2:3], v[116:117]
	;; [unrolled: 1-line block ×3, first 2 shown]
	s_delay_alu instid0(VALU_DEP_3) | instskip(SKIP_1) | instid1(VALU_DEP_2)
	v_mul_f64 v[34:35], v[32:33], s[2:3]
	v_mul_f64 v[32:33], v[32:33], 0.5
	v_fma_f64 v[34:35], v[40:41], 0.5, v[34:35]
	s_delay_alu instid0(VALU_DEP_2) | instskip(SKIP_2) | instid1(VALU_DEP_3)
	v_fma_f64 v[90:91], v[40:41], s[0:1], v[32:33]
	v_fma_f64 v[32:33], v[38:39], s[2:3], v[92:93]
	;; [unrolled: 1-line block ×3, first 2 shown]
	v_add_f64 v[42:43], v[118:119], v[90:91]
	s_delay_alu instid0(VALU_DEP_3)
	v_add_f64 v[40:41], v[32:33], v[34:35]
	v_add_f64 v[32:33], v[32:33], -v[34:35]
	v_add_f64 v[34:35], v[118:119], -v[90:91]
	v_fma_f64 v[90:91], v[36:37], s[2:3], v[94:95]
	v_fma_f64 v[36:37], v[46:47], s[0:1], v[44:45]
	v_mul_f64 v[44:45], v[88:89], s[2:3]
	v_mul_f64 v[46:47], v[88:89], -0.5
	s_delay_alu instid0(VALU_DEP_2) | instskip(NEXT) | instid1(VALU_DEP_2)
	v_fma_f64 v[88:89], v[36:37], -0.5, v[44:45]
	v_fma_f64 v[92:93], v[36:37], s[0:1], v[46:47]
	s_delay_alu instid0(VALU_DEP_2) | instskip(NEXT) | instid1(VALU_DEP_2)
	v_add_f64 v[44:45], v[38:39], v[88:89]
	v_add_f64 v[46:47], v[90:91], v[92:93]
	v_add_f64 v[36:37], v[38:39], -v[88:89]
	v_add_f64 v[38:39], v[90:91], -v[92:93]
	v_add_f64 v[92:93], v[100:101], v[108:109]
	ds_load_b128 v[88:91], v160 offset:1920
	s_waitcnt lgkmcnt(0)
	v_fma_f64 v[116:117], v[92:93], -0.5, v[88:89]
	v_add_f64 v[92:93], v[102:103], v[110:111]
	v_add_f64 v[88:89], v[88:89], v[100:101]
	s_delay_alu instid0(VALU_DEP_2) | instskip(NEXT) | instid1(VALU_DEP_2)
	v_fma_f64 v[118:119], v[92:93], -0.5, v[90:91]
	v_add_f64 v[92:93], v[88:89], v[108:109]
	v_add_f64 v[88:89], v[96:97], v[104:105]
	v_add_f64 v[90:91], v[90:91], v[102:103]
	v_add_f64 v[108:109], v[100:101], -v[108:109]
	s_delay_alu instid0(VALU_DEP_3) | instskip(SKIP_1) | instid1(VALU_DEP_4)
	v_add_f64 v[140:141], v[88:89], v[112:113]
	v_add_f64 v[88:89], v[98:99], v[106:107]
	v_add_f64 v[94:95], v[90:91], v[110:111]
	v_add_f64 v[110:111], v[102:103], -v[110:111]
	s_delay_alu instid0(VALU_DEP_3)
	v_add_f64 v[142:143], v[88:89], v[114:115]
	v_add_f64 v[88:89], v[92:93], v[140:141]
	v_add_f64 v[92:93], v[92:93], -v[140:141]
	v_add_f64 v[140:141], v[106:107], v[114:115]
	v_add_f64 v[106:107], v[106:107], -v[114:115]
	v_add_f64 v[90:91], v[94:95], v[142:143]
	v_add_f64 v[94:95], v[94:95], -v[142:143]
	v_fma_f64 v[142:143], v[108:109], s[0:1], v[118:119]
	v_fma_f64 v[140:141], v[140:141], -0.5, v[98:99]
	v_add_f64 v[98:99], v[104:105], v[112:113]
	v_add_f64 v[104:105], v[104:105], -v[112:113]
	s_delay_alu instid0(VALU_DEP_2) | instskip(NEXT) | instid1(VALU_DEP_2)
	v_fma_f64 v[112:113], v[98:99], -0.5, v[96:97]
	v_fma_f64 v[96:97], v[104:105], s[0:1], v[140:141]
	v_fma_f64 v[104:105], v[104:105], s[2:3], v[140:141]
	s_delay_alu instid0(VALU_DEP_3) | instskip(NEXT) | instid1(VALU_DEP_3)
	v_fma_f64 v[100:101], v[106:107], s[2:3], v[112:113]
	v_mul_f64 v[98:99], v[96:97], s[2:3]
	v_mul_f64 v[96:97], v[96:97], 0.5
	v_fma_f64 v[106:107], v[106:107], s[0:1], v[112:113]
	s_delay_alu instid0(VALU_DEP_3) | instskip(NEXT) | instid1(VALU_DEP_3)
	v_fma_f64 v[102:103], v[100:101], 0.5, v[98:99]
	v_fma_f64 v[114:115], v[100:101], s[0:1], v[96:97]
	v_fma_f64 v[100:101], v[110:111], s[2:3], v[116:117]
	v_fma_f64 v[110:111], v[110:111], s[0:1], v[116:117]
	v_add_f64 v[116:117], v[124:125], v[132:133]
	s_delay_alu instid0(VALU_DEP_4) | instskip(NEXT) | instid1(VALU_DEP_4)
	v_add_f64 v[98:99], v[142:143], v[114:115]
	v_add_f64 v[96:97], v[100:101], v[102:103]
	v_add_f64 v[100:101], v[100:101], -v[102:103]
	v_add_f64 v[102:103], v[142:143], -v[114:115]
	v_fma_f64 v[114:115], v[108:109], s[2:3], v[118:119]
	v_mul_f64 v[108:109], v[104:105], s[2:3]
	v_mul_f64 v[104:105], v[104:105], -0.5
	s_delay_alu instid0(VALU_DEP_2) | instskip(NEXT) | instid1(VALU_DEP_2)
	v_fma_f64 v[108:109], v[106:107], -0.5, v[108:109]
	v_fma_f64 v[112:113], v[106:107], s[0:1], v[104:105]
	s_delay_alu instid0(VALU_DEP_2) | instskip(NEXT) | instid1(VALU_DEP_2)
	v_add_f64 v[104:105], v[110:111], v[108:109]
	v_add_f64 v[106:107], v[114:115], v[112:113]
	v_add_f64 v[108:109], v[110:111], -v[108:109]
	v_add_f64 v[110:111], v[114:115], -v[112:113]
	ds_load_b128 v[112:115], v160 offset:2880
	s_waitcnt lgkmcnt(0)
	v_fma_f64 v[140:141], v[116:117], -0.5, v[112:113]
	v_add_f64 v[116:117], v[126:127], v[134:135]
	v_add_f64 v[112:113], v[112:113], v[124:125]
	s_delay_alu instid0(VALU_DEP_2) | instskip(NEXT) | instid1(VALU_DEP_2)
	v_fma_f64 v[142:143], v[116:117], -0.5, v[114:115]
	v_add_f64 v[116:117], v[112:113], v[132:133]
	v_add_f64 v[112:113], v[120:121], v[128:129]
	v_add_f64 v[114:115], v[114:115], v[126:127]
	v_add_f64 v[132:133], v[124:125], -v[132:133]
	s_delay_alu instid0(VALU_DEP_3) | instskip(SKIP_1) | instid1(VALU_DEP_4)
	v_add_f64 v[144:145], v[112:113], v[136:137]
	v_add_f64 v[112:113], v[122:123], v[130:131]
	v_add_f64 v[118:119], v[114:115], v[134:135]
	v_add_f64 v[134:135], v[126:127], -v[134:135]
	s_delay_alu instid0(VALU_DEP_3)
	v_add_f64 v[146:147], v[112:113], v[138:139]
	v_add_f64 v[112:113], v[116:117], v[144:145]
	v_add_f64 v[116:117], v[116:117], -v[144:145]
	v_add_f64 v[144:145], v[130:131], v[138:139]
	v_add_f64 v[130:131], v[130:131], -v[138:139]
	v_add_f64 v[114:115], v[118:119], v[146:147]
	v_add_f64 v[118:119], v[118:119], -v[146:147]
	v_fma_f64 v[146:147], v[132:133], s[0:1], v[142:143]
	v_fma_f64 v[144:145], v[144:145], -0.5, v[122:123]
	v_add_f64 v[122:123], v[128:129], v[136:137]
	v_add_f64 v[128:129], v[128:129], -v[136:137]
	s_delay_alu instid0(VALU_DEP_2) | instskip(NEXT) | instid1(VALU_DEP_2)
	v_fma_f64 v[136:137], v[122:123], -0.5, v[120:121]
	v_fma_f64 v[120:121], v[128:129], s[0:1], v[144:145]
	v_fma_f64 v[128:129], v[128:129], s[2:3], v[144:145]
	s_delay_alu instid0(VALU_DEP_3) | instskip(NEXT) | instid1(VALU_DEP_3)
	v_fma_f64 v[124:125], v[130:131], s[2:3], v[136:137]
	v_mul_f64 v[122:123], v[120:121], s[2:3]
	v_mul_f64 v[120:121], v[120:121], 0.5
	v_fma_f64 v[130:131], v[130:131], s[0:1], v[136:137]
	s_delay_alu instid0(VALU_DEP_3) | instskip(NEXT) | instid1(VALU_DEP_3)
	v_fma_f64 v[126:127], v[124:125], 0.5, v[122:123]
	v_fma_f64 v[138:139], v[124:125], s[0:1], v[120:121]
	v_fma_f64 v[124:125], v[134:135], s[2:3], v[140:141]
	v_fma_f64 v[134:135], v[134:135], s[0:1], v[140:141]
	v_add_f64 v[140:141], v[70:71], v[80:81]
	s_delay_alu instid0(VALU_DEP_4) | instskip(NEXT) | instid1(VALU_DEP_4)
	v_add_f64 v[122:123], v[146:147], v[138:139]
	v_add_f64 v[120:121], v[124:125], v[126:127]
	v_add_f64 v[124:125], v[124:125], -v[126:127]
	v_add_f64 v[126:127], v[146:147], -v[138:139]
	v_fma_f64 v[138:139], v[132:133], s[2:3], v[142:143]
	v_mul_f64 v[132:133], v[128:129], s[2:3]
	v_mul_f64 v[128:129], v[128:129], -0.5
	s_delay_alu instid0(VALU_DEP_2) | instskip(NEXT) | instid1(VALU_DEP_2)
	v_fma_f64 v[132:133], v[130:131], -0.5, v[132:133]
	v_fma_f64 v[136:137], v[130:131], s[0:1], v[128:129]
	s_delay_alu instid0(VALU_DEP_2) | instskip(NEXT) | instid1(VALU_DEP_2)
	v_add_f64 v[128:129], v[134:135], v[132:133]
	v_add_f64 v[130:131], v[138:139], v[136:137]
	v_add_f64 v[132:133], v[134:135], -v[132:133]
	v_add_f64 v[134:135], v[138:139], -v[136:137]
	;; [unrolled: 59-line block ×3, first 2 shown]
	ds_load_b128 v[84:87], v160 offset:4800
	s_waitcnt lgkmcnt(0)
	v_fma_f64 v[148:149], v[144:145], -0.5, v[84:85]
	v_add_f64 v[144:145], v[54:55], v[62:63]
	v_add_f64 v[84:85], v[84:85], v[50:51]
	s_delay_alu instid0(VALU_DEP_2) | instskip(NEXT) | instid1(VALU_DEP_2)
	v_fma_f64 v[150:151], v[144:145], -0.5, v[86:87]
	v_add_f64 v[144:145], v[84:85], v[60:61]
	v_add_f64 v[84:85], v[48:49], v[58:59]
	;; [unrolled: 1-line block ×3, first 2 shown]
	v_add_f64 v[60:61], v[50:51], -v[60:61]
	s_delay_alu instid0(VALU_DEP_3) | instskip(SKIP_1) | instid1(VALU_DEP_4)
	v_add_f64 v[152:153], v[84:85], v[66:67]
	v_add_f64 v[84:85], v[52:53], v[56:57]
	;; [unrolled: 1-line block ×3, first 2 shown]
	v_add_f64 v[62:63], v[54:55], -v[62:63]
	s_delay_alu instid0(VALU_DEP_3)
	v_add_f64 v[154:155], v[84:85], v[64:65]
	v_add_f64 v[84:85], v[144:145], v[152:153]
	v_add_f64 v[144:145], v[144:145], -v[152:153]
	v_add_f64 v[152:153], v[56:57], v[64:65]
	v_add_f64 v[56:57], v[56:57], -v[64:65]
	;; [unrolled: 2-line block ×3, first 2 shown]
	v_fma_f64 v[154:155], v[60:61], s[0:1], v[150:151]
	v_fma_f64 v[152:153], v[152:153], -0.5, v[52:53]
	v_add_f64 v[52:53], v[58:59], v[66:67]
	v_add_f64 v[58:59], v[58:59], -v[66:67]
	s_delay_alu instid0(VALU_DEP_2) | instskip(NEXT) | instid1(VALU_DEP_2)
	v_fma_f64 v[66:67], v[52:53], -0.5, v[48:49]
	v_fma_f64 v[48:49], v[58:59], s[0:1], v[152:153]
	v_fma_f64 v[58:59], v[58:59], s[2:3], v[152:153]
	s_delay_alu instid0(VALU_DEP_3) | instskip(NEXT) | instid1(VALU_DEP_3)
	v_fma_f64 v[52:53], v[56:57], s[2:3], v[66:67]
	v_mul_f64 v[50:51], v[48:49], s[2:3]
	v_mul_f64 v[48:49], v[48:49], 0.5
	v_fma_f64 v[56:57], v[56:57], s[0:1], v[66:67]
	s_delay_alu instid0(VALU_DEP_3) | instskip(NEXT) | instid1(VALU_DEP_3)
	v_fma_f64 v[54:55], v[52:53], 0.5, v[50:51]
	v_fma_f64 v[64:65], v[52:53], s[0:1], v[48:49]
	v_fma_f64 v[52:53], v[62:63], s[2:3], v[148:149]
	;; [unrolled: 1-line block ×3, first 2 shown]
	s_delay_alu instid0(VALU_DEP_3) | instskip(NEXT) | instid1(VALU_DEP_3)
	v_add_f64 v[50:51], v[154:155], v[64:65]
	v_add_f64 v[48:49], v[52:53], v[54:55]
	v_add_f64 v[52:53], v[52:53], -v[54:55]
	v_add_f64 v[54:55], v[154:155], -v[64:65]
	v_fma_f64 v[64:65], v[60:61], s[2:3], v[150:151]
	v_mul_f64 v[60:61], v[58:59], s[2:3]
	v_mul_f64 v[58:59], v[58:59], -0.5
	s_mov_b32 s2, 0xc901e574
	s_mov_b32 s3, 0x3f3e573a
	s_delay_alu instid0(VALU_DEP_2) | instskip(NEXT) | instid1(VALU_DEP_2)
	v_fma_f64 v[60:61], v[56:57], -0.5, v[60:61]
	v_fma_f64 v[66:67], v[56:57], s[0:1], v[58:59]
	s_mul_hi_u32 s1, s4, 0xd8
	s_delay_alu instid0(VALU_DEP_2) | instskip(NEXT) | instid1(VALU_DEP_2)
	v_add_f64 v[56:57], v[62:63], v[60:61]
	v_add_f64 v[58:59], v[64:65], v[66:67]
	v_add_f64 v[60:61], v[62:63], -v[60:61]
	v_add_f64 v[62:63], v[64:65], -v[66:67]
	ds_store_b128 v160, v[28:31] offset:960
	ds_store_b128 v160, v[88:91] offset:1920
	;; [unrolled: 1-line block ×34, first 2 shown]
	ds_store_b128 v160, v[0:3]
	ds_store_b128 v160, v[60:63] offset:33600
	s_waitcnt lgkmcnt(0)
	s_barrier
	buffer_gl0_inv
	s_clause 0x7
	scratch_load_b128 v[6:9], off, off offset:188
	scratch_load_b128 v[38:41], off, off offset:172
	;; [unrolled: 1-line block ×8, first 2 shown]
	ds_load_b128 v[0:3], v160
	s_clause 0xe
	scratch_load_b128 v[34:37], off, off offset:332
	scratch_load_b128 v[58:61], off, off offset:428
	;; [unrolled: 1-line block ×15, first 2 shown]
	s_waitcnt vmcnt(22) lgkmcnt(0)
	v_mul_f64 v[4:5], v[8:9], v[2:3]
	s_delay_alu instid0(VALU_DEP_1) | instskip(SKIP_1) | instid1(VALU_DEP_1)
	v_fma_f64 v[4:5], v[6:7], v[0:1], v[4:5]
	v_mul_f64 v[0:1], v[8:9], v[0:1]
	v_fma_f64 v[6:7], v[6:7], v[2:3], -v[0:1]
	ds_load_b128 v[0:3], v160 offset:3456
	s_waitcnt vmcnt(20) lgkmcnt(0)
	v_mul_f64 v[8:9], v[12:13], v[2:3]
	s_delay_alu instid0(VALU_DEP_1) | instskip(SKIP_1) | instid1(VALU_DEP_1)
	v_fma_f64 v[8:9], v[10:11], v[0:1], v[8:9]
	v_mul_f64 v[0:1], v[12:13], v[0:1]
	v_fma_f64 v[10:11], v[10:11], v[2:3], -v[0:1]
	ds_load_b128 v[0:3], v160 offset:6912
	;; [unrolled: 7-line block ×5, first 2 shown]
	s_waitcnt lgkmcnt(0)
	v_mul_f64 v[24:25], v[28:29], v[2:3]
	s_delay_alu instid0(VALU_DEP_1) | instskip(SKIP_1) | instid1(VALU_DEP_1)
	v_fma_f64 v[24:25], v[26:27], v[0:1], v[24:25]
	v_mul_f64 v[0:1], v[28:29], v[0:1]
	v_fma_f64 v[26:27], v[26:27], v[2:3], -v[0:1]
	ds_load_b128 v[0:3], v160 offset:20736
	s_waitcnt lgkmcnt(0)
	v_mul_f64 v[28:29], v[32:33], v[2:3]
	s_delay_alu instid0(VALU_DEP_1) | instskip(SKIP_1) | instid1(VALU_DEP_1)
	v_fma_f64 v[28:29], v[30:31], v[0:1], v[28:29]
	v_mul_f64 v[0:1], v[32:33], v[0:1]
	v_fma_f64 v[30:31], v[30:31], v[2:3], -v[0:1]
	ds_load_b128 v[0:3], v160 offset:24192
	s_waitcnt vmcnt(14) lgkmcnt(0)
	v_mul_f64 v[32:33], v[36:37], v[2:3]
	s_delay_alu instid0(VALU_DEP_1) | instskip(SKIP_1) | instid1(VALU_DEP_1)
	v_fma_f64 v[32:33], v[34:35], v[0:1], v[32:33]
	v_mul_f64 v[0:1], v[36:37], v[0:1]
	v_fma_f64 v[34:35], v[34:35], v[2:3], -v[0:1]
	ds_load_b128 v[0:3], v160 offset:27648
	s_waitcnt lgkmcnt(0)
	v_mul_f64 v[36:37], v[40:41], v[2:3]
	s_delay_alu instid0(VALU_DEP_1) | instskip(SKIP_1) | instid1(VALU_DEP_1)
	v_fma_f64 v[36:37], v[38:39], v[0:1], v[36:37]
	v_mul_f64 v[0:1], v[40:41], v[0:1]
	v_fma_f64 v[38:39], v[38:39], v[2:3], -v[0:1]
	ds_load_b128 v[0:3], v160 offset:31104
	s_waitcnt vmcnt(12) lgkmcnt(0)
	v_mul_f64 v[40:41], v[44:45], v[2:3]
	s_delay_alu instid0(VALU_DEP_1) | instskip(SKIP_1) | instid1(VALU_DEP_1)
	v_fma_f64 v[40:41], v[42:43], v[0:1], v[40:41]
	v_mul_f64 v[0:1], v[44:45], v[0:1]
	v_fma_f64 v[42:43], v[42:43], v[2:3], -v[0:1]
	ds_load_b128 v[0:3], v160 offset:960
	s_waitcnt vmcnt(11) lgkmcnt(0)
	;; [unrolled: 7-line block ×4, first 2 shown]
	v_mul_f64 v[52:53], v[56:57], v[2:3]
	s_delay_alu instid0(VALU_DEP_1) | instskip(SKIP_1) | instid1(VALU_DEP_1)
	v_fma_f64 v[52:53], v[54:55], v[0:1], v[52:53]
	v_mul_f64 v[0:1], v[56:57], v[0:1]
	v_fma_f64 v[54:55], v[54:55], v[2:3], -v[0:1]
	ds_load_b128 v[0:3], v160 offset:11328
	s_waitcnt lgkmcnt(0)
	v_mul_f64 v[56:57], v[60:61], v[2:3]
	s_delay_alu instid0(VALU_DEP_1) | instskip(SKIP_1) | instid1(VALU_DEP_1)
	v_fma_f64 v[56:57], v[58:59], v[0:1], v[56:57]
	v_mul_f64 v[0:1], v[60:61], v[0:1]
	v_fma_f64 v[58:59], v[58:59], v[2:3], -v[0:1]
	ds_load_b128 v[0:3], v160 offset:14784
	s_waitcnt vmcnt(6) lgkmcnt(0)
	v_mul_f64 v[60:61], v[64:65], v[2:3]
	s_delay_alu instid0(VALU_DEP_1) | instskip(SKIP_1) | instid1(VALU_DEP_1)
	v_fma_f64 v[60:61], v[62:63], v[0:1], v[60:61]
	v_mul_f64 v[0:1], v[64:65], v[0:1]
	v_fma_f64 v[62:63], v[62:63], v[2:3], -v[0:1]
	ds_load_b128 v[0:3], v160 offset:18240
	s_waitcnt vmcnt(5) lgkmcnt(0)
	;; [unrolled: 7-line block ×4, first 2 shown]
	v_mul_f64 v[72:73], v[76:77], v[2:3]
	s_delay_alu instid0(VALU_DEP_1) | instskip(SKIP_1) | instid1(VALU_DEP_1)
	v_fma_f64 v[72:73], v[74:75], v[0:1], v[72:73]
	v_mul_f64 v[0:1], v[76:77], v[0:1]
	v_fma_f64 v[74:75], v[74:75], v[2:3], -v[0:1]
	ds_load_b128 v[0:3], v160 offset:28608
	s_waitcnt lgkmcnt(0)
	v_mul_f64 v[76:77], v[80:81], v[2:3]
	s_delay_alu instid0(VALU_DEP_1) | instskip(SKIP_1) | instid1(VALU_DEP_1)
	v_fma_f64 v[76:77], v[78:79], v[0:1], v[76:77]
	v_mul_f64 v[0:1], v[80:81], v[0:1]
	v_fma_f64 v[78:79], v[78:79], v[2:3], -v[0:1]
	ds_load_b128 v[0:3], v160 offset:32064
	s_waitcnt vmcnt(2) lgkmcnt(0)
	v_mul_f64 v[80:81], v[84:85], v[2:3]
	s_delay_alu instid0(VALU_DEP_1) | instskip(SKIP_1) | instid1(VALU_DEP_1)
	v_fma_f64 v[80:81], v[82:83], v[0:1], v[80:81]
	v_mul_f64 v[0:1], v[84:85], v[0:1]
	v_fma_f64 v[82:83], v[82:83], v[2:3], -v[0:1]
	ds_load_b128 v[0:3], v160 offset:1920
	s_waitcnt lgkmcnt(0)
	v_mul_f64 v[84:85], v[88:89], v[2:3]
	s_delay_alu instid0(VALU_DEP_1) | instskip(SKIP_1) | instid1(VALU_DEP_1)
	v_fma_f64 v[84:85], v[86:87], v[0:1], v[84:85]
	v_mul_f64 v[0:1], v[88:89], v[0:1]
	v_fma_f64 v[86:87], v[86:87], v[2:3], -v[0:1]
	ds_load_b128 v[0:3], v160 offset:5376
	s_waitcnt vmcnt(1) lgkmcnt(0)
	v_mul_f64 v[88:89], v[92:93], v[2:3]
	s_delay_alu instid0(VALU_DEP_1) | instskip(SKIP_1) | instid1(VALU_DEP_1)
	v_fma_f64 v[88:89], v[90:91], v[0:1], v[88:89]
	v_mul_f64 v[0:1], v[92:93], v[0:1]
	v_fma_f64 v[90:91], v[90:91], v[2:3], -v[0:1]
	scratch_load_b64 v[0:1], off, off offset:64 ; 8-byte Folded Reload
	s_waitcnt vmcnt(0)
	v_mov_b32_e32 v3, v0
	s_delay_alu instid0(VALU_DEP_1) | instskip(NEXT) | instid1(VALU_DEP_1)
	v_mad_u64_u32 v[92:93], null, s6, v3, 0
	v_mov_b32_e32 v0, v93
	s_delay_alu instid0(VALU_DEP_1) | instskip(SKIP_1) | instid1(VALU_DEP_2)
	v_mad_u64_u32 v[1:2], null, s7, v3, v[0:1]
	v_mul_f64 v[2:3], v[6:7], s[2:3]
	v_mov_b32_e32 v93, v1
	v_mul_f64 v[0:1], v[4:5], s[2:3]
	v_mad_u64_u32 v[4:5], null, s4, v226, 0
	s_delay_alu instid0(VALU_DEP_1) | instskip(NEXT) | instid1(VALU_DEP_1)
	v_mad_u64_u32 v[6:7], null, s5, v226, v[5:6]
	v_mov_b32_e32 v5, v6
	v_lshlrev_b64 v[6:7], 4, v[92:93]
	s_delay_alu instid0(VALU_DEP_2) | instskip(NEXT) | instid1(VALU_DEP_2)
	v_lshlrev_b64 v[4:5], 4, v[4:5]
	v_add_co_u32 v92, s0, s8, v6
	s_delay_alu instid0(VALU_DEP_1) | instskip(SKIP_1) | instid1(VALU_DEP_3)
	v_add_co_ci_u32_e64 v93, s0, s9, v7, s0
	v_mul_f64 v[6:7], v[30:31], s[2:3]
	v_add_co_u32 v4, s0, v92, v4
	s_delay_alu instid0(VALU_DEP_1) | instskip(SKIP_1) | instid1(SALU_CYCLE_1)
	v_add_co_ci_u32_e64 v5, s0, v93, v5, s0
	s_mul_i32 s0, s5, 0xd8
	s_add_i32 s1, s1, s0
	s_mul_i32 s0, s4, 0xd8
	global_store_b128 v[4:5], v[0:3], off
	v_mul_f64 v[0:1], v[8:9], s[2:3]
	v_mul_f64 v[2:3], v[10:11], s[2:3]
	s_lshl_b64 s[6:7], s[0:1], 4
	v_mul_f64 v[10:11], v[34:35], s[2:3]
	v_add_co_u32 v4, s0, v4, s6
	s_delay_alu instid0(VALU_DEP_1)
	v_add_co_ci_u32_e64 v5, s0, s7, v5, s0
	s_mul_i32 s1, s5, 0xfffff8a4
	global_store_b128 v[4:5], v[0:3], off
	v_mul_f64 v[0:1], v[12:13], s[2:3]
	v_mul_f64 v[2:3], v[14:15], s[2:3]
	v_add_co_u32 v4, s0, v4, s6
	s_delay_alu instid0(VALU_DEP_1)
	v_add_co_ci_u32_e64 v5, s0, s7, v5, s0
	global_store_b128 v[4:5], v[0:3], off
	v_mul_f64 v[0:1], v[16:17], s[2:3]
	scratch_load_b32 v17, off, off offset:168 ; 4-byte Folded Reload
	v_mul_f64 v[2:3], v[18:19], s[2:3]
	v_add_co_u32 v4, s0, v4, s6
	s_delay_alu instid0(VALU_DEP_1) | instskip(SKIP_1) | instid1(VALU_DEP_3)
	v_add_co_ci_u32_e64 v5, s0, s7, v5, s0
	v_mul_f64 v[18:19], v[46:47], s[2:3]
	v_add_co_u32 v8, s0, v4, s6
	s_delay_alu instid0(VALU_DEP_1) | instskip(SKIP_1) | instid1(VALU_DEP_3)
	v_add_co_ci_u32_e64 v9, s0, s7, v5, s0
	v_mul_f64 v[46:47], v[74:75], s[2:3]
	v_add_co_u32 v12, s0, v8, s6
	s_delay_alu instid0(VALU_DEP_1)
	v_add_co_ci_u32_e64 v13, s0, s7, v9, s0
	global_store_b128 v[4:5], v[0:3], off
	v_mul_f64 v[0:1], v[20:21], s[2:3]
	v_mul_f64 v[2:3], v[22:23], s[2:3]
	;; [unrolled: 1-line block ×3, first 2 shown]
	ds_load_b128 v[20:23], v160 offset:33024
	ds_load_b128 v[28:31], v160 offset:12288
	global_store_b128 v[8:9], v[0:3], off
	v_mul_f64 v[0:1], v[24:25], s[2:3]
	v_mul_f64 v[2:3], v[26:27], s[2:3]
	v_add_co_u32 v26, s0, v12, s6
	s_delay_alu instid0(VALU_DEP_1) | instskip(SKIP_1) | instid1(VALU_DEP_3)
	v_add_co_ci_u32_e64 v27, s0, s7, v13, s0
	v_mul_f64 v[8:9], v[32:33], s[2:3]
	v_add_co_u32 v32, s0, v26, s6
	s_delay_alu instid0(VALU_DEP_1)
	v_add_co_ci_u32_e64 v33, s0, s7, v27, s0
	global_store_b128 v[12:13], v[0:3], off
	global_store_b128 v[26:27], v[4:7], off
	v_mul_f64 v[26:27], v[54:55], s[2:3]
	v_mul_f64 v[0:1], v[36:37], s[2:3]
	;; [unrolled: 1-line block ×4, first 2 shown]
	global_store_b128 v[32:33], v[8:11], off
	v_mul_f64 v[8:9], v[48:49], s[2:3]
	v_mul_f64 v[10:11], v[50:51], s[2:3]
	v_mad_u64_u32 v[36:37], null, 0x1b00, s4, v[32:33]
	v_mul_f64 v[32:33], v[60:61], s[2:3]
	v_mul_f64 v[48:49], v[76:77], s[2:3]
	;; [unrolled: 1-line block ×3, first 2 shown]
	s_delay_alu instid0(VALU_DEP_4) | instskip(SKIP_2) | instid1(VALU_DEP_1)
	v_add_nc_u32_e32 v37, s10, v37
	s_waitcnt vmcnt(0)
	v_mad_u64_u32 v[24:25], null, s4, v17, 0
	v_mov_b32_e32 v14, v25
	s_delay_alu instid0(VALU_DEP_1) | instskip(SKIP_1) | instid1(VALU_DEP_2)
	v_mad_u64_u32 v[15:16], null, s5, v17, v[14:15]
	v_mul_f64 v[16:17], v[44:45], s[2:3]
	v_mov_b32_e32 v25, v15
	v_mul_f64 v[14:15], v[42:43], s[2:3]
	v_mul_f64 v[42:43], v[70:71], s[2:3]
	s_delay_alu instid0(VALU_DEP_3) | instskip(SKIP_1) | instid1(VALU_DEP_2)
	v_lshlrev_b64 v[4:5], 4, v[24:25]
	v_mul_f64 v[24:25], v[52:53], s[2:3]
	v_add_co_u32 v34, s0, v92, v4
	s_delay_alu instid0(VALU_DEP_1) | instskip(SKIP_2) | instid1(SALU_CYCLE_1)
	v_add_co_ci_u32_e64 v35, s0, v93, v5, s0
	ds_load_b128 v[4:7], v160 offset:8832
	s_mul_hi_u32 s0, s4, 0xfffff8a4
	s_sub_i32 s0, s0, s4
	global_store_b128 v[34:35], v[0:3], off
	s_add_i32 s1, s0, s1
	s_mul_i32 s0, s4, 0xfffff8a4
	v_mul_f64 v[34:35], v[62:63], s[2:3]
	s_lshl_b64 s[8:9], s[0:1], 4
	ds_load_b128 v[0:3], v160 offset:19200
	v_add_co_u32 v38, s0, v36, s8
	s_delay_alu instid0(VALU_DEP_1) | instskip(NEXT) | instid1(VALU_DEP_2)
	v_add_co_ci_u32_e64 v39, s0, s9, v37, s0
	v_add_co_u32 v40, s0, v38, s6
	s_delay_alu instid0(VALU_DEP_1)
	v_add_co_ci_u32_e64 v41, s0, s7, v39, s0
	s_waitcnt lgkmcnt(1)
	v_mul_f64 v[52:53], v[96:97], v[6:7]
	v_mul_f64 v[54:55], v[96:97], v[4:5]
	v_add_co_u32 v44, s0, v40, s6
	global_store_b128 v[36:37], v[12:15], off
	global_store_b128 v[38:39], v[16:19], off
	v_mul_f64 v[16:17], v[56:57], s[2:3]
	v_mul_f64 v[18:19], v[58:59], s[2:3]
	;; [unrolled: 1-line block ×4, first 2 shown]
	v_add_co_ci_u32_e64 v45, s0, s7, v41, s0
	global_store_b128 v[40:41], v[8:11], off
	v_add_co_u32 v56, s0, v44, s6
	global_store_b128 v[44:45], v[24:27], off
	ds_load_b128 v[24:27], v160 offset:22656
	v_add_co_ci_u32_e64 v57, s0, s7, v45, s0
	v_add_co_u32 v58, s0, v56, s6
	v_mul_f64 v[40:41], v[68:69], s[2:3]
	s_delay_alu instid0(VALU_DEP_3) | instskip(NEXT) | instid1(VALU_DEP_3)
	v_add_co_ci_u32_e64 v59, s0, s7, v57, s0
	v_add_co_u32 v60, s0, v58, s6
	ds_load_b128 v[12:15], v160 offset:26112
	v_add_co_ci_u32_e64 v61, s0, s7, v59, s0
	v_mul_f64 v[44:45], v[72:73], s[2:3]
	scratch_load_b128 v[72:75], off, off offset:144 ; 16-byte Folded Reload
	ds_load_b128 v[8:11], v160 offset:15744
	v_fma_f64 v[52:53], v[94:95], v[4:5], v[52:53]
	v_fma_f64 v[54:55], v[94:95], v[6:7], -v[54:55]
	scratch_load_b128 v[94:97], off, off offset:348 ; 16-byte Folded Reload
	ds_load_b128 v[4:7], v160 offset:29568
	global_store_b128 v[56:57], v[16:19], off
	global_store_b128 v[58:59], v[32:35], off
	;; [unrolled: 1-line block ×3, first 2 shown]
	v_add_co_u32 v16, s0, v60, s6
	s_delay_alu instid0(VALU_DEP_1)
	v_add_co_ci_u32_e64 v17, s0, s7, v61, s0
	v_mul_f64 v[18:19], v[82:83], s[2:3]
	v_mul_f64 v[32:33], v[84:85], s[2:3]
	;; [unrolled: 1-line block ×3, first 2 shown]
	global_store_b128 v[16:17], v[40:43], off
	v_add_co_u32 v16, s0, v16, s6
	s_delay_alu instid0(VALU_DEP_1) | instskip(NEXT) | instid1(VALU_DEP_2)
	v_add_co_ci_u32_e64 v17, s0, s7, v17, s0
	v_add_co_u32 v42, s0, v16, s6
	global_store_b128 v[16:17], v[44:47], off
	v_add_co_ci_u32_e64 v43, s0, s7, v17, s0
	v_mul_f64 v[16:17], v[80:81], s[2:3]
	global_store_b128 v[42:43], v[48:51], off
	s_waitcnt vmcnt(0) lgkmcnt(3)
	v_mul_f64 v[36:37], v[96:97], v[26:27]
	v_mul_f64 v[38:39], v[96:97], v[24:25]
	scratch_load_b128 v[96:99], off, off offset:364 ; 16-byte Folded Reload
	v_fma_f64 v[24:25], v[94:95], v[24:25], v[36:37]
	v_fma_f64 v[26:27], v[94:95], v[26:27], -v[38:39]
	s_waitcnt vmcnt(0) lgkmcnt(2)
	v_mul_f64 v[60:61], v[98:99], v[14:15]
	v_mul_f64 v[40:41], v[98:99], v[12:13]
	scratch_load_b128 v[98:101], off, off offset:380 ; 16-byte Folded Reload
	v_fma_f64 v[36:37], v[96:97], v[12:13], v[60:61]
	v_fma_f64 v[38:39], v[96:97], v[14:15], -v[40:41]
	s_waitcnt vmcnt(0) lgkmcnt(0)
	v_mul_f64 v[44:45], v[100:101], v[6:7]
	v_mul_f64 v[46:47], v[100:101], v[4:5]
	scratch_load_b128 v[100:103], off, off offset:396 ; 16-byte Folded Reload
	v_fma_f64 v[40:41], v[98:99], v[4:5], v[44:45]
	scratch_load_b32 v5, off, off offset:132 ; 4-byte Folded Reload
	v_mul_f64 v[62:63], v[74:75], v[30:31]
	v_mul_f64 v[56:57], v[74:75], v[28:29]
	scratch_load_b128 v[74:77], off, off offset:300 ; 16-byte Folded Reload
	v_fma_f64 v[44:45], v[98:99], v[6:7], -v[46:47]
	v_fma_f64 v[50:51], v[72:73], v[28:29], v[62:63]
	v_fma_f64 v[56:57], v[72:73], v[30:31], -v[56:57]
	v_mul_f64 v[28:29], v[88:89], s[2:3]
	v_mul_f64 v[30:31], v[90:91], s[2:3]
	s_waitcnt vmcnt(2)
	v_mul_f64 v[70:71], v[102:103], v[22:23]
	v_mul_f64 v[48:49], v[102:103], v[20:21]
	s_delay_alu instid0(VALU_DEP_2) | instskip(NEXT) | instid1(VALU_DEP_2)
	v_fma_f64 v[46:47], v[100:101], v[20:21], v[70:71]
	v_fma_f64 v[48:49], v[100:101], v[22:23], -v[48:49]
	s_waitcnt vmcnt(0)
	v_mul_f64 v[64:65], v[76:77], v[10:11]
	v_mul_f64 v[66:67], v[76:77], v[8:9]
	scratch_load_b128 v[76:79], off, off offset:316 ; 16-byte Folded Reload
	v_mul_f64 v[20:21], v[36:37], s[2:3]
	v_mul_f64 v[22:23], v[38:39], s[2:3]
	;; [unrolled: 1-line block ×4, first 2 shown]
	v_fma_f64 v[62:63], v[74:75], v[8:9], v[64:65]
	v_fma_f64 v[64:65], v[74:75], v[10:11], -v[66:67]
	v_mul_f64 v[8:9], v[52:53], s[2:3]
	v_mul_f64 v[10:11], v[54:55], s[2:3]
	s_delay_alu instid0(VALU_DEP_3) | instskip(SKIP_3) | instid1(VALU_DEP_2)
	v_mul_f64 v[6:7], v[64:65], s[2:3]
	s_waitcnt vmcnt(0)
	v_mul_f64 v[58:59], v[78:79], v[2:3]
	v_mul_f64 v[68:69], v[78:79], v[0:1]
	v_fma_f64 v[52:53], v[76:77], v[0:1], v[58:59]
	s_delay_alu instid0(VALU_DEP_2) | instskip(SKIP_1) | instid1(VALU_DEP_1)
	v_fma_f64 v[54:55], v[76:77], v[2:3], -v[68:69]
	v_add_co_u32 v0, s0, v42, s6
	v_add_co_ci_u32_e64 v1, s0, s7, v43, s0
	v_mad_u64_u32 v[42:43], null, s4, v5, 0
	s_delay_alu instid0(VALU_DEP_3) | instskip(NEXT) | instid1(VALU_DEP_1)
	v_add_co_u32 v58, s0, v0, s8
	v_add_co_ci_u32_e64 v59, s0, s9, v1, s0
	global_store_b128 v[0:1], v[16:19], off
	v_add_co_u32 v60, s0, v58, s6
	v_mul_f64 v[0:1], v[50:51], s[2:3]
	v_mul_f64 v[2:3], v[56:57], s[2:3]
	v_add_co_ci_u32_e64 v61, s0, s7, v59, s0
	s_delay_alu instid0(VALU_DEP_4) | instskip(SKIP_1) | instid1(VALU_DEP_3)
	v_add_co_u32 v66, s0, v60, s6
	v_mov_b32_e32 v4, v43
	v_add_co_ci_u32_e64 v67, s0, s7, v61, s0
	v_mul_f64 v[16:17], v[24:25], s[2:3]
	v_mul_f64 v[18:19], v[26:27], s[2:3]
	s_delay_alu instid0(VALU_DEP_4) | instskip(NEXT) | instid1(VALU_DEP_4)
	v_mad_u64_u32 v[50:51], null, s5, v5, v[4:5]
	v_mad_u64_u32 v[56:57], null, 0x1b00, s4, v[66:67]
	v_mul_f64 v[4:5], v[62:63], s[2:3]
	v_mul_f64 v[24:25], v[40:41], s[2:3]
	v_mul_f64 v[26:27], v[44:45], s[2:3]
	global_store_b128 v[58:59], v[32:35], off
	global_store_b128 v[60:61], v[28:31], off
	global_store_b128 v[66:67], v[8:11], off
	v_mov_b32_e32 v43, v50
	v_add_nc_u32_e32 v57, s10, v57
	v_add_co_u32 v8, s0, v56, s6
	v_mul_f64 v[12:13], v[52:53], s[2:3]
	v_mul_f64 v[14:15], v[54:55], s[2:3]
	s_delay_alu instid0(VALU_DEP_4) | instskip(SKIP_2) | instid1(VALU_DEP_1)
	v_add_co_ci_u32_e64 v9, s0, s7, v57, s0
	v_lshlrev_b64 v[10:11], 4, v[42:43]
	v_add_co_u32 v28, s0, v8, s6
	v_add_co_ci_u32_e64 v29, s0, s7, v9, s0
	s_delay_alu instid0(VALU_DEP_3) | instskip(NEXT) | instid1(VALU_DEP_1)
	v_add_co_u32 v10, s0, v92, v10
	v_add_co_ci_u32_e64 v11, s0, v93, v11, s0
	s_delay_alu instid0(VALU_DEP_4) | instskip(NEXT) | instid1(VALU_DEP_1)
	v_add_co_u32 v30, s0, v28, s6
	v_add_co_ci_u32_e64 v31, s0, s7, v29, s0
	global_store_b128 v[10:11], v[0:3], off
	v_add_co_u32 v2, s0, v30, s6
	s_delay_alu instid0(VALU_DEP_1) | instskip(NEXT) | instid1(VALU_DEP_2)
	v_add_co_ci_u32_e64 v3, s0, s7, v31, s0
	v_add_co_u32 v0, s0, v2, s6
	s_delay_alu instid0(VALU_DEP_1)
	v_add_co_ci_u32_e64 v1, s0, s7, v3, s0
	global_store_b128 v[56:57], v[4:7], off
	global_store_b128 v[8:9], v[12:15], off
	global_store_b128 v[28:29], v[16:19], off
	global_store_b128 v[30:31], v[20:23], off
	global_store_b128 v[2:3], v[24:27], off
	global_store_b128 v[0:1], v[36:39], off
	s_and_b32 exec_lo, exec_lo, vcc_lo
	s_cbranch_execz .LBB0_15
; %bb.14:
	scratch_load_b64 v[2:3], off, off offset:124 ; 8-byte Folded Reload
	s_waitcnt vmcnt(0)
	global_load_b128 v[2:5], v[2:3], off offset:2880
	ds_load_b128 v[6:9], v160 offset:2880
	ds_load_b128 v[10:13], v160 offset:33984
	s_waitcnt vmcnt(0) lgkmcnt(1)
	v_mul_f64 v[14:15], v[8:9], v[4:5]
	v_mul_f64 v[4:5], v[6:7], v[4:5]
	s_delay_alu instid0(VALU_DEP_2) | instskip(NEXT) | instid1(VALU_DEP_2)
	v_fma_f64 v[6:7], v[6:7], v[2:3], v[14:15]
	v_fma_f64 v[4:5], v[2:3], v[8:9], -v[4:5]
	v_add_co_u32 v8, vcc_lo, v0, s8
	v_add_co_ci_u32_e32 v9, vcc_lo, s9, v1, vcc_lo
	scratch_load_b64 v[0:1], off, off offset:108 ; 8-byte Folded Reload
	v_mul_f64 v[2:3], v[6:7], s[2:3]
	v_mul_f64 v[4:5], v[4:5], s[2:3]
	global_store_b128 v[8:9], v[2:5], off
	s_waitcnt vmcnt(0)
	global_load_b128 v[0:3], v[0:1], off offset:2240
	ds_load_b128 v[4:7], v160 offset:6336
	ds_load_b128 v[14:17], v160 offset:9792
	s_waitcnt vmcnt(0) lgkmcnt(1)
	v_mul_f64 v[18:19], v[6:7], v[2:3]
	v_mul_f64 v[2:3], v[4:5], v[2:3]
	s_delay_alu instid0(VALU_DEP_2) | instskip(NEXT) | instid1(VALU_DEP_2)
	v_fma_f64 v[4:5], v[4:5], v[0:1], v[18:19]
	v_fma_f64 v[2:3], v[0:1], v[6:7], -v[2:3]
	s_delay_alu instid0(VALU_DEP_2) | instskip(NEXT) | instid1(VALU_DEP_2)
	v_mul_f64 v[0:1], v[4:5], s[2:3]
	v_mul_f64 v[2:3], v[2:3], s[2:3]
	v_add_co_u32 v4, vcc_lo, v8, s6
	v_add_co_ci_u32_e32 v5, vcc_lo, s7, v9, vcc_lo
	s_delay_alu instid0(VALU_DEP_2) | instskip(NEXT) | instid1(VALU_DEP_2)
	v_add_co_u32 v8, vcc_lo, v4, s6
	v_add_co_ci_u32_e32 v9, vcc_lo, s7, v5, vcc_lo
	global_store_b128 v[4:5], v[0:3], off
	scratch_load_b64 v[0:1], off, off offset:100 ; 8-byte Folded Reload
	s_waitcnt vmcnt(0)
	global_load_b128 v[0:3], v[0:1], off offset:1600
	s_waitcnt vmcnt(0) lgkmcnt(0)
	v_mul_f64 v[6:7], v[16:17], v[2:3]
	v_mul_f64 v[2:3], v[14:15], v[2:3]
	s_delay_alu instid0(VALU_DEP_2) | instskip(NEXT) | instid1(VALU_DEP_2)
	v_fma_f64 v[6:7], v[14:15], v[0:1], v[6:7]
	v_fma_f64 v[2:3], v[0:1], v[16:17], -v[2:3]
	s_delay_alu instid0(VALU_DEP_2) | instskip(NEXT) | instid1(VALU_DEP_2)
	v_mul_f64 v[0:1], v[6:7], s[2:3]
	v_mul_f64 v[2:3], v[2:3], s[2:3]
	global_store_b128 v[8:9], v[0:3], off
	scratch_load_b64 v[0:1], off, off offset:92 ; 8-byte Folded Reload
	s_waitcnt vmcnt(0)
	global_load_b128 v[0:3], v[0:1], off offset:960
	ds_load_b128 v[4:7], v160 offset:13248
	ds_load_b128 v[14:17], v160 offset:16704
	s_waitcnt vmcnt(0) lgkmcnt(1)
	v_mul_f64 v[18:19], v[6:7], v[2:3]
	v_mul_f64 v[2:3], v[4:5], v[2:3]
	s_delay_alu instid0(VALU_DEP_2) | instskip(SKIP_4) | instid1(VALU_DEP_3)
	v_fma_f64 v[4:5], v[4:5], v[0:1], v[18:19]
	scratch_load_b64 v[18:19], off, off offset:84 ; 8-byte Folded Reload
	v_fma_f64 v[2:3], v[0:1], v[6:7], -v[2:3]
	v_mul_f64 v[0:1], v[4:5], s[2:3]
	v_add_co_u32 v4, vcc_lo, v8, s6
	v_mul_f64 v[2:3], v[2:3], s[2:3]
	v_add_co_ci_u32_e32 v5, vcc_lo, s7, v9, vcc_lo
	s_delay_alu instid0(VALU_DEP_3) | instskip(NEXT) | instid1(VALU_DEP_2)
	v_add_co_u32 v8, vcc_lo, v4, s6
	v_add_co_ci_u32_e32 v9, vcc_lo, s7, v5, vcc_lo
	global_store_b128 v[4:5], v[0:3], off
	s_waitcnt vmcnt(0)
	global_load_b128 v[0:3], v[18:19], off offset:320
	s_waitcnt vmcnt(0) lgkmcnt(0)
	v_mul_f64 v[6:7], v[16:17], v[2:3]
	v_mul_f64 v[2:3], v[14:15], v[2:3]
	s_delay_alu instid0(VALU_DEP_2) | instskip(NEXT) | instid1(VALU_DEP_2)
	v_fma_f64 v[6:7], v[14:15], v[0:1], v[6:7]
	v_fma_f64 v[2:3], v[0:1], v[16:17], -v[2:3]
	s_delay_alu instid0(VALU_DEP_2) | instskip(NEXT) | instid1(VALU_DEP_2)
	v_mul_f64 v[0:1], v[6:7], s[2:3]
	v_mul_f64 v[2:3], v[2:3], s[2:3]
	global_store_b128 v[8:9], v[0:3], off
	global_load_b128 v[0:3], v[18:19], off offset:3776
	ds_load_b128 v[4:7], v160 offset:20160
	ds_load_b128 v[14:17], v160 offset:23616
	s_waitcnt vmcnt(0) lgkmcnt(1)
	v_mul_f64 v[18:19], v[6:7], v[2:3]
	v_mul_f64 v[2:3], v[4:5], v[2:3]
	s_delay_alu instid0(VALU_DEP_2) | instskip(NEXT) | instid1(VALU_DEP_2)
	v_fma_f64 v[4:5], v[4:5], v[0:1], v[18:19]
	v_fma_f64 v[2:3], v[0:1], v[6:7], -v[2:3]
	s_delay_alu instid0(VALU_DEP_2) | instskip(NEXT) | instid1(VALU_DEP_2)
	v_mul_f64 v[0:1], v[4:5], s[2:3]
	v_mul_f64 v[2:3], v[2:3], s[2:3]
	v_add_co_u32 v4, vcc_lo, v8, s6
	v_add_co_ci_u32_e32 v5, vcc_lo, s7, v9, vcc_lo
	s_delay_alu instid0(VALU_DEP_2) | instskip(NEXT) | instid1(VALU_DEP_2)
	v_add_co_u32 v8, vcc_lo, v4, s6
	v_add_co_ci_u32_e32 v9, vcc_lo, s7, v5, vcc_lo
	global_store_b128 v[4:5], v[0:3], off
	scratch_load_b64 v[0:1], off, off offset:76 ; 8-byte Folded Reload
	s_waitcnt vmcnt(0)
	global_load_b128 v[0:3], v[0:1], off offset:3136
	s_waitcnt vmcnt(0) lgkmcnt(0)
	v_mul_f64 v[6:7], v[16:17], v[2:3]
	v_mul_f64 v[2:3], v[14:15], v[2:3]
	s_delay_alu instid0(VALU_DEP_2) | instskip(NEXT) | instid1(VALU_DEP_2)
	v_fma_f64 v[6:7], v[14:15], v[0:1], v[6:7]
	v_fma_f64 v[2:3], v[0:1], v[16:17], -v[2:3]
	s_delay_alu instid0(VALU_DEP_2) | instskip(NEXT) | instid1(VALU_DEP_2)
	v_mul_f64 v[0:1], v[6:7], s[2:3]
	v_mul_f64 v[2:3], v[2:3], s[2:3]
	global_store_b128 v[8:9], v[0:3], off
	scratch_load_b64 v[0:1], off, off offset:136 ; 8-byte Folded Reload
	s_waitcnt vmcnt(0)
	global_load_b128 v[0:3], v[0:1], off offset:2496
	ds_load_b128 v[4:7], v160 offset:27072
	ds_load_b128 v[14:17], v160 offset:30528
	s_waitcnt vmcnt(0) lgkmcnt(1)
	v_mul_f64 v[18:19], v[6:7], v[2:3]
	v_mul_f64 v[2:3], v[4:5], v[2:3]
	s_delay_alu instid0(VALU_DEP_2) | instskip(NEXT) | instid1(VALU_DEP_2)
	v_fma_f64 v[4:5], v[4:5], v[0:1], v[18:19]
	v_fma_f64 v[2:3], v[0:1], v[6:7], -v[2:3]
	s_delay_alu instid0(VALU_DEP_2) | instskip(NEXT) | instid1(VALU_DEP_2)
	v_mul_f64 v[0:1], v[4:5], s[2:3]
	v_mul_f64 v[2:3], v[2:3], s[2:3]
	v_add_co_u32 v4, vcc_lo, v8, s6
	v_add_co_ci_u32_e32 v5, vcc_lo, s7, v9, vcc_lo
	global_store_b128 v[4:5], v[0:3], off
	scratch_load_b64 v[0:1], off, off offset:116 ; 8-byte Folded Reload
	v_add_co_u32 v4, vcc_lo, v4, s6
	v_add_co_ci_u32_e32 v5, vcc_lo, s7, v5, vcc_lo
	s_waitcnt vmcnt(0)
	global_load_b128 v[0:3], v[0:1], off offset:1856
	s_waitcnt vmcnt(0) lgkmcnt(0)
	v_mul_f64 v[6:7], v[16:17], v[2:3]
	v_mul_f64 v[2:3], v[14:15], v[2:3]
	s_delay_alu instid0(VALU_DEP_2) | instskip(NEXT) | instid1(VALU_DEP_2)
	v_fma_f64 v[6:7], v[14:15], v[0:1], v[6:7]
	v_fma_f64 v[2:3], v[0:1], v[16:17], -v[2:3]
	s_delay_alu instid0(VALU_DEP_2) | instskip(NEXT) | instid1(VALU_DEP_2)
	v_mul_f64 v[0:1], v[6:7], s[2:3]
	v_mul_f64 v[2:3], v[2:3], s[2:3]
	global_store_b128 v[4:5], v[0:3], off
	scratch_load_b64 v[0:1], off, off offset:160 ; 8-byte Folded Reload
	v_add_co_u32 v4, vcc_lo, v4, s6
	v_add_co_ci_u32_e32 v5, vcc_lo, s7, v5, vcc_lo
	s_waitcnt vmcnt(0)
	global_load_b128 v[0:3], v[0:1], off offset:1216
	s_waitcnt vmcnt(0)
	v_mul_f64 v[6:7], v[12:13], v[2:3]
	v_mul_f64 v[2:3], v[10:11], v[2:3]
	s_delay_alu instid0(VALU_DEP_2) | instskip(NEXT) | instid1(VALU_DEP_2)
	v_fma_f64 v[6:7], v[10:11], v[0:1], v[6:7]
	v_fma_f64 v[2:3], v[0:1], v[12:13], -v[2:3]
	s_delay_alu instid0(VALU_DEP_2) | instskip(NEXT) | instid1(VALU_DEP_2)
	v_mul_f64 v[0:1], v[6:7], s[2:3]
	v_mul_f64 v[2:3], v[2:3], s[2:3]
	global_store_b128 v[4:5], v[0:3], off
.LBB0_15:
	s_nop 0
	s_sendmsg sendmsg(MSG_DEALLOC_VGPRS)
	s_endpgm
	.section	.rodata,"a",@progbits
	.p2align	6, 0x0
	.amdhsa_kernel bluestein_single_fwd_len2160_dim1_dp_op_CI_CI
		.amdhsa_group_segment_fixed_size 34560
		.amdhsa_private_segment_fixed_size 2016
		.amdhsa_kernarg_size 104
		.amdhsa_user_sgpr_count 15
		.amdhsa_user_sgpr_dispatch_ptr 0
		.amdhsa_user_sgpr_queue_ptr 0
		.amdhsa_user_sgpr_kernarg_segment_ptr 1
		.amdhsa_user_sgpr_dispatch_id 0
		.amdhsa_user_sgpr_private_segment_size 0
		.amdhsa_wavefront_size32 1
		.amdhsa_uses_dynamic_stack 0
		.amdhsa_enable_private_segment 1
		.amdhsa_system_sgpr_workgroup_id_x 1
		.amdhsa_system_sgpr_workgroup_id_y 0
		.amdhsa_system_sgpr_workgroup_id_z 0
		.amdhsa_system_sgpr_workgroup_info 0
		.amdhsa_system_vgpr_workitem_id 0
		.amdhsa_next_free_vgpr 256
		.amdhsa_next_free_sgpr 23
		.amdhsa_reserve_vcc 1
		.amdhsa_float_round_mode_32 0
		.amdhsa_float_round_mode_16_64 0
		.amdhsa_float_denorm_mode_32 3
		.amdhsa_float_denorm_mode_16_64 3
		.amdhsa_dx10_clamp 1
		.amdhsa_ieee_mode 1
		.amdhsa_fp16_overflow 0
		.amdhsa_workgroup_processor_mode 1
		.amdhsa_memory_ordered 1
		.amdhsa_forward_progress 0
		.amdhsa_shared_vgpr_count 0
		.amdhsa_exception_fp_ieee_invalid_op 0
		.amdhsa_exception_fp_denorm_src 0
		.amdhsa_exception_fp_ieee_div_zero 0
		.amdhsa_exception_fp_ieee_overflow 0
		.amdhsa_exception_fp_ieee_underflow 0
		.amdhsa_exception_fp_ieee_inexact 0
		.amdhsa_exception_int_div_zero 0
	.end_amdhsa_kernel
	.text
.Lfunc_end0:
	.size	bluestein_single_fwd_len2160_dim1_dp_op_CI_CI, .Lfunc_end0-bluestein_single_fwd_len2160_dim1_dp_op_CI_CI
                                        ; -- End function
	.section	.AMDGPU.csdata,"",@progbits
; Kernel info:
; codeLenInByte = 52776
; NumSgprs: 25
; NumVgprs: 256
; ScratchSize: 2016
; MemoryBound: 0
; FloatMode: 240
; IeeeMode: 1
; LDSByteSize: 34560 bytes/workgroup (compile time only)
; SGPRBlocks: 3
; VGPRBlocks: 31
; NumSGPRsForWavesPerEU: 25
; NumVGPRsForWavesPerEU: 256
; Occupancy: 2
; WaveLimiterHint : 1
; COMPUTE_PGM_RSRC2:SCRATCH_EN: 1
; COMPUTE_PGM_RSRC2:USER_SGPR: 15
; COMPUTE_PGM_RSRC2:TRAP_HANDLER: 0
; COMPUTE_PGM_RSRC2:TGID_X_EN: 1
; COMPUTE_PGM_RSRC2:TGID_Y_EN: 0
; COMPUTE_PGM_RSRC2:TGID_Z_EN: 0
; COMPUTE_PGM_RSRC2:TIDIG_COMP_CNT: 0
	.text
	.p2alignl 7, 3214868480
	.fill 96, 4, 3214868480
	.type	__hip_cuid_7b7d3703e4c5164,@object ; @__hip_cuid_7b7d3703e4c5164
	.section	.bss,"aw",@nobits
	.globl	__hip_cuid_7b7d3703e4c5164
__hip_cuid_7b7d3703e4c5164:
	.byte	0                               ; 0x0
	.size	__hip_cuid_7b7d3703e4c5164, 1

	.ident	"AMD clang version 19.0.0git (https://github.com/RadeonOpenCompute/llvm-project roc-6.4.0 25133 c7fe45cf4b819c5991fe208aaa96edf142730f1d)"
	.section	".note.GNU-stack","",@progbits
	.addrsig
	.addrsig_sym __hip_cuid_7b7d3703e4c5164
	.amdgpu_metadata
---
amdhsa.kernels:
  - .args:
      - .actual_access:  read_only
        .address_space:  global
        .offset:         0
        .size:           8
        .value_kind:     global_buffer
      - .actual_access:  read_only
        .address_space:  global
        .offset:         8
        .size:           8
        .value_kind:     global_buffer
      - .actual_access:  read_only
        .address_space:  global
        .offset:         16
        .size:           8
        .value_kind:     global_buffer
      - .actual_access:  read_only
        .address_space:  global
        .offset:         24
        .size:           8
        .value_kind:     global_buffer
      - .actual_access:  read_only
        .address_space:  global
        .offset:         32
        .size:           8
        .value_kind:     global_buffer
      - .offset:         40
        .size:           8
        .value_kind:     by_value
      - .address_space:  global
        .offset:         48
        .size:           8
        .value_kind:     global_buffer
      - .address_space:  global
        .offset:         56
        .size:           8
        .value_kind:     global_buffer
      - .address_space:  global
        .offset:         64
        .size:           8
        .value_kind:     global_buffer
      - .address_space:  global
        .offset:         72
        .size:           8
        .value_kind:     global_buffer
      - .offset:         80
        .size:           4
        .value_kind:     by_value
      - .address_space:  global
        .offset:         88
        .size:           8
        .value_kind:     global_buffer
      - .address_space:  global
        .offset:         96
        .size:           8
        .value_kind:     global_buffer
    .group_segment_fixed_size: 34560
    .kernarg_segment_align: 8
    .kernarg_segment_size: 104
    .language:       OpenCL C
    .language_version:
      - 2
      - 0
    .max_flat_workgroup_size: 60
    .name:           bluestein_single_fwd_len2160_dim1_dp_op_CI_CI
    .private_segment_fixed_size: 2016
    .sgpr_count:     25
    .sgpr_spill_count: 0
    .symbol:         bluestein_single_fwd_len2160_dim1_dp_op_CI_CI.kd
    .uniform_work_group_size: 1
    .uses_dynamic_stack: false
    .vgpr_count:     256
    .vgpr_spill_count: 531
    .wavefront_size: 32
    .workgroup_processor_mode: 1
amdhsa.target:   amdgcn-amd-amdhsa--gfx1100
amdhsa.version:
  - 1
  - 2
...

	.end_amdgpu_metadata
